;; amdgpu-corpus repo=ROCm/rocFFT kind=compiled arch=gfx906 opt=O3
	.text
	.amdgcn_target "amdgcn-amd-amdhsa--gfx906"
	.amdhsa_code_object_version 6
	.protected	fft_rtc_fwd_len3750_factors_3_5_5_10_5_wgs_125_tpt_125_halfLds_dp_ip_CI_sbrr_dirReg ; -- Begin function fft_rtc_fwd_len3750_factors_3_5_5_10_5_wgs_125_tpt_125_halfLds_dp_ip_CI_sbrr_dirReg
	.globl	fft_rtc_fwd_len3750_factors_3_5_5_10_5_wgs_125_tpt_125_halfLds_dp_ip_CI_sbrr_dirReg
	.p2align	8
	.type	fft_rtc_fwd_len3750_factors_3_5_5_10_5_wgs_125_tpt_125_halfLds_dp_ip_CI_sbrr_dirReg,@function
fft_rtc_fwd_len3750_factors_3_5_5_10_5_wgs_125_tpt_125_halfLds_dp_ip_CI_sbrr_dirReg: ; @fft_rtc_fwd_len3750_factors_3_5_5_10_5_wgs_125_tpt_125_halfLds_dp_ip_CI_sbrr_dirReg
; %bb.0:
	s_load_dwordx2 s[14:15], s[4:5], 0x18
	s_load_dwordx4 s[8:11], s[4:5], 0x0
	s_load_dwordx2 s[12:13], s[4:5], 0x50
	v_mul_u32_u24_e32 v1, 0x20d, v0
	v_add_u32_sdwa v5, s6, v1 dst_sel:DWORD dst_unused:UNUSED_PAD src0_sel:DWORD src1_sel:WORD_1
	s_waitcnt lgkmcnt(0)
	s_load_dwordx2 s[2:3], s[14:15], 0x0
	v_cmp_lt_u64_e64 s[0:1], s[10:11], 2
	v_mov_b32_e32 v3, 0
	v_mov_b32_e32 v1, 0
	;; [unrolled: 1-line block ×3, first 2 shown]
	s_and_b64 vcc, exec, s[0:1]
	v_mov_b32_e32 v2, 0
	s_cbranch_vccnz .LBB0_8
; %bb.1:
	s_load_dwordx2 s[0:1], s[4:5], 0x10
	s_add_u32 s6, s14, 8
	s_addc_u32 s7, s15, 0
	v_mov_b32_e32 v1, 0
	v_mov_b32_e32 v2, 0
	s_waitcnt lgkmcnt(0)
	s_add_u32 s16, s0, 8
	s_addc_u32 s17, s1, 0
	s_mov_b64 s[18:19], 1
.LBB0_2:                                ; =>This Inner Loop Header: Depth=1
	s_load_dwordx2 s[20:21], s[16:17], 0x0
                                        ; implicit-def: $vgpr7_vgpr8
	s_waitcnt lgkmcnt(0)
	v_or_b32_e32 v4, s21, v6
	v_cmp_ne_u64_e32 vcc, 0, v[3:4]
	s_and_saveexec_b64 s[0:1], vcc
	s_xor_b64 s[22:23], exec, s[0:1]
	s_cbranch_execz .LBB0_4
; %bb.3:                                ;   in Loop: Header=BB0_2 Depth=1
	v_cvt_f32_u32_e32 v4, s20
	v_cvt_f32_u32_e32 v7, s21
	s_sub_u32 s0, 0, s20
	s_subb_u32 s1, 0, s21
	v_mac_f32_e32 v4, 0x4f800000, v7
	v_rcp_f32_e32 v4, v4
	v_mul_f32_e32 v4, 0x5f7ffffc, v4
	v_mul_f32_e32 v7, 0x2f800000, v4
	v_trunc_f32_e32 v7, v7
	v_mac_f32_e32 v4, 0xcf800000, v7
	v_cvt_u32_f32_e32 v7, v7
	v_cvt_u32_f32_e32 v4, v4
	v_mul_lo_u32 v8, s0, v7
	v_mul_hi_u32 v9, s0, v4
	v_mul_lo_u32 v11, s1, v4
	v_mul_lo_u32 v10, s0, v4
	v_add_u32_e32 v8, v9, v8
	v_add_u32_e32 v8, v8, v11
	v_mul_hi_u32 v9, v4, v10
	v_mul_lo_u32 v11, v4, v8
	v_mul_hi_u32 v13, v4, v8
	v_mul_hi_u32 v12, v7, v10
	v_mul_lo_u32 v10, v7, v10
	v_mul_hi_u32 v14, v7, v8
	v_add_co_u32_e32 v9, vcc, v9, v11
	v_addc_co_u32_e32 v11, vcc, 0, v13, vcc
	v_mul_lo_u32 v8, v7, v8
	v_add_co_u32_e32 v9, vcc, v9, v10
	v_addc_co_u32_e32 v9, vcc, v11, v12, vcc
	v_addc_co_u32_e32 v10, vcc, 0, v14, vcc
	v_add_co_u32_e32 v8, vcc, v9, v8
	v_addc_co_u32_e32 v9, vcc, 0, v10, vcc
	v_add_co_u32_e32 v4, vcc, v4, v8
	v_addc_co_u32_e32 v7, vcc, v7, v9, vcc
	v_mul_lo_u32 v8, s0, v7
	v_mul_hi_u32 v9, s0, v4
	v_mul_lo_u32 v10, s1, v4
	v_mul_lo_u32 v11, s0, v4
	v_add_u32_e32 v8, v9, v8
	v_add_u32_e32 v8, v8, v10
	v_mul_lo_u32 v12, v4, v8
	v_mul_hi_u32 v13, v4, v11
	v_mul_hi_u32 v14, v4, v8
	;; [unrolled: 1-line block ×3, first 2 shown]
	v_mul_lo_u32 v11, v7, v11
	v_mul_hi_u32 v9, v7, v8
	v_add_co_u32_e32 v12, vcc, v13, v12
	v_addc_co_u32_e32 v13, vcc, 0, v14, vcc
	v_mul_lo_u32 v8, v7, v8
	v_add_co_u32_e32 v11, vcc, v12, v11
	v_addc_co_u32_e32 v10, vcc, v13, v10, vcc
	v_addc_co_u32_e32 v9, vcc, 0, v9, vcc
	v_add_co_u32_e32 v8, vcc, v10, v8
	v_addc_co_u32_e32 v9, vcc, 0, v9, vcc
	v_add_co_u32_e32 v4, vcc, v4, v8
	v_addc_co_u32_e32 v9, vcc, v7, v9, vcc
	v_mad_u64_u32 v[7:8], s[0:1], v5, v9, 0
	v_mul_hi_u32 v10, v5, v4
	v_add_co_u32_e32 v11, vcc, v10, v7
	v_addc_co_u32_e32 v12, vcc, 0, v8, vcc
	v_mad_u64_u32 v[7:8], s[0:1], v6, v4, 0
	v_mad_u64_u32 v[9:10], s[0:1], v6, v9, 0
	v_add_co_u32_e32 v4, vcc, v11, v7
	v_addc_co_u32_e32 v4, vcc, v12, v8, vcc
	v_addc_co_u32_e32 v7, vcc, 0, v10, vcc
	v_add_co_u32_e32 v4, vcc, v4, v9
	v_addc_co_u32_e32 v9, vcc, 0, v7, vcc
	v_mul_lo_u32 v10, s21, v4
	v_mul_lo_u32 v11, s20, v9
	v_mad_u64_u32 v[7:8], s[0:1], s20, v4, 0
	v_add3_u32 v8, v8, v11, v10
	v_sub_u32_e32 v10, v6, v8
	v_mov_b32_e32 v11, s21
	v_sub_co_u32_e32 v7, vcc, v5, v7
	v_subb_co_u32_e64 v10, s[0:1], v10, v11, vcc
	v_subrev_co_u32_e64 v11, s[0:1], s20, v7
	v_subbrev_co_u32_e64 v10, s[0:1], 0, v10, s[0:1]
	v_cmp_le_u32_e64 s[0:1], s21, v10
	v_cndmask_b32_e64 v12, 0, -1, s[0:1]
	v_cmp_le_u32_e64 s[0:1], s20, v11
	v_cndmask_b32_e64 v11, 0, -1, s[0:1]
	v_cmp_eq_u32_e64 s[0:1], s21, v10
	v_cndmask_b32_e64 v10, v12, v11, s[0:1]
	v_add_co_u32_e64 v11, s[0:1], 2, v4
	v_addc_co_u32_e64 v12, s[0:1], 0, v9, s[0:1]
	v_add_co_u32_e64 v13, s[0:1], 1, v4
	v_addc_co_u32_e64 v14, s[0:1], 0, v9, s[0:1]
	v_subb_co_u32_e32 v8, vcc, v6, v8, vcc
	v_cmp_ne_u32_e64 s[0:1], 0, v10
	v_cmp_le_u32_e32 vcc, s21, v8
	v_cndmask_b32_e64 v10, v14, v12, s[0:1]
	v_cndmask_b32_e64 v12, 0, -1, vcc
	v_cmp_le_u32_e32 vcc, s20, v7
	v_cndmask_b32_e64 v7, 0, -1, vcc
	v_cmp_eq_u32_e32 vcc, s21, v8
	v_cndmask_b32_e32 v7, v12, v7, vcc
	v_cmp_ne_u32_e32 vcc, 0, v7
	v_cndmask_b32_e64 v7, v13, v11, s[0:1]
	v_cndmask_b32_e32 v8, v9, v10, vcc
	v_cndmask_b32_e32 v7, v4, v7, vcc
.LBB0_4:                                ;   in Loop: Header=BB0_2 Depth=1
	s_andn2_saveexec_b64 s[0:1], s[22:23]
	s_cbranch_execz .LBB0_6
; %bb.5:                                ;   in Loop: Header=BB0_2 Depth=1
	v_cvt_f32_u32_e32 v4, s20
	s_sub_i32 s22, 0, s20
	v_rcp_iflag_f32_e32 v4, v4
	v_mul_f32_e32 v4, 0x4f7ffffe, v4
	v_cvt_u32_f32_e32 v4, v4
	v_mul_lo_u32 v7, s22, v4
	v_mul_hi_u32 v7, v4, v7
	v_add_u32_e32 v4, v4, v7
	v_mul_hi_u32 v4, v5, v4
	v_mul_lo_u32 v7, v4, s20
	v_add_u32_e32 v8, 1, v4
	v_sub_u32_e32 v7, v5, v7
	v_subrev_u32_e32 v9, s20, v7
	v_cmp_le_u32_e32 vcc, s20, v7
	v_cndmask_b32_e32 v7, v7, v9, vcc
	v_cndmask_b32_e32 v4, v4, v8, vcc
	v_add_u32_e32 v8, 1, v4
	v_cmp_le_u32_e32 vcc, s20, v7
	v_cndmask_b32_e32 v7, v4, v8, vcc
	v_mov_b32_e32 v8, v3
.LBB0_6:                                ;   in Loop: Header=BB0_2 Depth=1
	s_or_b64 exec, exec, s[0:1]
	v_mul_lo_u32 v4, v8, s20
	v_mul_lo_u32 v11, v7, s21
	v_mad_u64_u32 v[9:10], s[0:1], v7, s20, 0
	s_load_dwordx2 s[0:1], s[6:7], 0x0
	s_add_u32 s18, s18, 1
	v_add3_u32 v4, v10, v11, v4
	v_sub_co_u32_e32 v5, vcc, v5, v9
	v_subb_co_u32_e32 v4, vcc, v6, v4, vcc
	s_waitcnt lgkmcnt(0)
	v_mul_lo_u32 v4, s0, v4
	v_mul_lo_u32 v6, s1, v5
	v_mad_u64_u32 v[1:2], s[0:1], s0, v5, v[1:2]
	s_addc_u32 s19, s19, 0
	s_add_u32 s6, s6, 8
	v_add3_u32 v2, v6, v2, v4
	v_mov_b32_e32 v4, s10
	v_mov_b32_e32 v5, s11
	s_addc_u32 s7, s7, 0
	v_cmp_ge_u64_e32 vcc, s[18:19], v[4:5]
	s_add_u32 s16, s16, 8
	s_addc_u32 s17, s17, 0
	s_cbranch_vccnz .LBB0_9
; %bb.7:                                ;   in Loop: Header=BB0_2 Depth=1
	v_mov_b32_e32 v5, v7
	v_mov_b32_e32 v6, v8
	s_branch .LBB0_2
.LBB0_8:
	v_mov_b32_e32 v8, v6
	v_mov_b32_e32 v7, v5
.LBB0_9:
	s_lshl_b64 s[0:1], s[10:11], 3
	s_add_u32 s0, s14, s0
	s_addc_u32 s1, s15, s1
	s_load_dwordx2 s[6:7], s[0:1], 0x0
	s_load_dwordx2 s[10:11], s[4:5], 0x20
                                        ; implicit-def: $vgpr123
                                        ; implicit-def: $vgpr124
                                        ; implicit-def: $vgpr125
                                        ; implicit-def: $vgpr126
                                        ; implicit-def: $vgpr128
                                        ; implicit-def: $vgpr130
                                        ; implicit-def: $vgpr140
	s_waitcnt lgkmcnt(0)
	v_mad_u64_u32 v[1:2], s[0:1], s6, v7, v[1:2]
	s_mov_b32 s0, 0x20c49bb
	v_mul_lo_u32 v3, s6, v8
	v_mul_lo_u32 v4, s7, v7
	v_mul_hi_u32 v5, v0, s0
	v_cmp_gt_u64_e32 vcc, s[10:11], v[7:8]
	v_cmp_le_u64_e64 s[0:1], s[10:11], v[7:8]
	v_add3_u32 v2, v4, v2, v3
	v_mul_u32_u24_e32 v3, 0x7d, v5
	v_sub_u32_e32 v122, v0, v3
	s_and_saveexec_b64 s[4:5], s[0:1]
	s_xor_b64 s[0:1], exec, s[4:5]
; %bb.10:
	v_add_u32_e32 v123, 0x7d, v122
	v_add_u32_e32 v124, 0xfa, v122
	;; [unrolled: 1-line block ×7, first 2 shown]
; %bb.11:
	s_or_saveexec_b64 s[4:5], s[0:1]
	v_lshlrev_b64 v[120:121], 4, v[1:2]
                                        ; implicit-def: $vgpr2_vgpr3
                                        ; implicit-def: $vgpr10_vgpr11
                                        ; implicit-def: $vgpr14_vgpr15
                                        ; implicit-def: $vgpr6_vgpr7
                                        ; implicit-def: $vgpr22_vgpr23
                                        ; implicit-def: $vgpr18_vgpr19
                                        ; implicit-def: $vgpr26_vgpr27
                                        ; implicit-def: $vgpr34_vgpr35
                                        ; implicit-def: $vgpr30_vgpr31
                                        ; implicit-def: $vgpr38_vgpr39
                                        ; implicit-def: $vgpr42_vgpr43
                                        ; implicit-def: $vgpr46_vgpr47
                                        ; implicit-def: $vgpr50_vgpr51
                                        ; implicit-def: $vgpr54_vgpr55
                                        ; implicit-def: $vgpr58_vgpr59
                                        ; implicit-def: $vgpr62_vgpr63
                                        ; implicit-def: $vgpr66_vgpr67
                                        ; implicit-def: $vgpr70_vgpr71
                                        ; implicit-def: $vgpr74_vgpr75
                                        ; implicit-def: $vgpr78_vgpr79
                                        ; implicit-def: $vgpr82_vgpr83
                                        ; implicit-def: $vgpr86_vgpr87
                                        ; implicit-def: $vgpr90_vgpr91
                                        ; implicit-def: $vgpr94_vgpr95
                                        ; implicit-def: $vgpr98_vgpr99
                                        ; implicit-def: $vgpr102_vgpr103
                                        ; implicit-def: $vgpr106_vgpr107
                                        ; implicit-def: $vgpr114_vgpr115
                                        ; implicit-def: $vgpr118_vgpr119
                                        ; implicit-def: $vgpr110_vgpr111
	s_xor_b64 exec, exec, s[4:5]
	s_cbranch_execz .LBB0_13
; %bb.12:
	v_mad_u64_u32 v[0:1], s[0:1], s2, v122, 0
	v_add_u32_e32 v5, 0x4e2, v122
	v_mov_b32_e32 v4, s13
	v_mad_u64_u32 v[1:2], s[0:1], s3, v122, v[1:2]
	v_mad_u64_u32 v[2:3], s[0:1], s2, v5, 0
	v_add_co_u32_e64 v18, s[0:1], s12, v120
	v_addc_co_u32_e64 v19, s[0:1], v4, v121, s[0:1]
	v_mad_u64_u32 v[3:4], s[0:1], s3, v5, v[3:4]
	v_add_u32_e32 v5, 0x9c4, v122
	v_mad_u64_u32 v[6:7], s[0:1], s2, v5, 0
	v_lshlrev_b64 v[0:1], 4, v[0:1]
	v_add_u32_e32 v123, 0x7d, v122
	v_add_co_u32_e64 v0, s[0:1], v18, v0
	v_mov_b32_e32 v4, v7
	v_addc_co_u32_e64 v1, s[0:1], v19, v1, s[0:1]
	v_mad_u64_u32 v[7:8], s[0:1], s3, v5, v[4:5]
	v_mad_u64_u32 v[8:9], s[0:1], s2, v123, 0
	v_lshlrev_b64 v[2:3], 4, v[2:3]
	v_add_u32_e32 v12, 0x55f, v122
	v_add_co_u32_e64 v4, s[0:1], v18, v2
	v_addc_co_u32_e64 v5, s[0:1], v19, v3, s[0:1]
	v_lshlrev_b64 v[2:3], 4, v[6:7]
	v_mov_b32_e32 v6, v9
	v_mad_u64_u32 v[6:7], s[0:1], s3, v123, v[6:7]
	v_mad_u64_u32 v[10:11], s[0:1], s2, v12, 0
	v_mov_b32_e32 v9, v6
	v_add_co_u32_e64 v2, s[0:1], v18, v2
	v_lshlrev_b64 v[6:7], 4, v[8:9]
	v_mov_b32_e32 v8, v11
	v_addc_co_u32_e64 v3, s[0:1], v19, v3, s[0:1]
	v_mad_u64_u32 v[8:9], s[0:1], s3, v12, v[8:9]
	v_add_u32_e32 v14, 0xa41, v122
	v_mad_u64_u32 v[12:13], s[0:1], s2, v14, 0
	v_mov_b32_e32 v11, v8
	v_add_co_u32_e64 v6, s[0:1], v18, v6
	v_lshlrev_b64 v[8:9], 4, v[10:11]
	v_mov_b32_e32 v10, v13
	v_addc_co_u32_e64 v7, s[0:1], v19, v7, s[0:1]
	v_mad_u64_u32 v[10:11], s[0:1], s3, v14, v[10:11]
	v_add_u32_e32 v124, 0xfa, v122
	;; [unrolled: 8-line block ×15, first 2 shown]
	v_mad_u64_u32 v[42:43], s[0:1], s2, v39, 0
	v_add_co_u32_e64 v131, s[0:1], v18, v36
	v_mov_b32_e32 v41, v38
	v_mov_b32_e32 v38, v43
	v_addc_co_u32_e64 v132, s[0:1], v19, v37, s[0:1]
	v_lshlrev_b64 v[36:37], 4, v[40:41]
	v_mad_u64_u32 v[38:39], s[0:1], s3, v39, v[38:39]
	v_add_u32_e32 v41, 0xcb2, v122
	v_mad_u64_u32 v[39:40], s[0:1], s2, v41, 0
	v_add_co_u32_e64 v133, s[0:1], v18, v36
	v_mov_b32_e32 v43, v38
	v_mov_b32_e32 v38, v40
	v_addc_co_u32_e64 v134, s[0:1], v19, v37, s[0:1]
	v_lshlrev_b64 v[36:37], 4, v[42:43]
	v_mad_u64_u32 v[40:41], s[0:1], s3, v41, v[38:39]
	v_add_u32_e32 v43, 0x36b, v122
	v_mad_u64_u32 v[41:42], s[0:1], s2, v43, 0
	v_add_co_u32_e64 v135, s[0:1], v18, v36
	v_mov_b32_e32 v38, v42
	v_addc_co_u32_e64 v136, s[0:1], v19, v37, s[0:1]
	v_lshlrev_b64 v[36:37], 4, v[39:40]
	v_mad_u64_u32 v[38:39], s[0:1], s3, v43, v[38:39]
	v_add_u32_e32 v43, 0x84d, v122
	v_mad_u64_u32 v[39:40], s[0:1], s2, v43, 0
	v_add_co_u32_e64 v137, s[0:1], v18, v36
	v_mov_b32_e32 v42, v38
	v_mov_b32_e32 v38, v40
	v_addc_co_u32_e64 v138, s[0:1], v19, v37, s[0:1]
	v_lshlrev_b64 v[36:37], 4, v[41:42]
	v_mad_u64_u32 v[40:41], s[0:1], s3, v43, v[38:39]
	v_add_u32_e32 v43, 0xd2f, v122
	v_mad_u64_u32 v[41:42], s[0:1], s2, v43, 0
	v_add_co_u32_e64 v141, s[0:1], v18, v36
	;; [unrolled: 15-line block ×4, first 2 shown]
	v_mov_b32_e32 v38, v42
	v_addc_co_u32_e64 v150, s[0:1], v19, v37, s[0:1]
	v_lshlrev_b64 v[36:37], 4, v[39:40]
	v_mad_u64_u32 v[38:39], s[0:1], s3, v140, v[38:39]
	v_add_co_u32_e64 v151, s[0:1], v18, v36
	v_add_u32_e32 v40, 0x947, v122
	v_addc_co_u32_e64 v152, s[0:1], v19, v37, s[0:1]
	v_mov_b32_e32 v42, v38
	v_mad_u64_u32 v[38:39], s[0:1], s2, v40, 0
	v_lshlrev_b64 v[36:37], 4, v[41:42]
	global_load_dwordx4 v[108:111], v[0:1], off
	global_load_dwordx4 v[116:119], v[4:5], off
	v_add_co_u32_e64 v153, s[0:1], v18, v36
	v_mov_b32_e32 v36, v39
	v_addc_co_u32_e64 v154, s[0:1], v19, v37, s[0:1]
	v_mad_u64_u32 v[36:37], s[0:1], s3, v40, v[36:37]
	v_add_u32_e32 v37, 0xe29, v122
	v_mad_u64_u32 v[40:41], s[0:1], s2, v37, 0
	v_mov_b32_e32 v39, v36
	v_lshlrev_b64 v[0:1], 4, v[38:39]
	v_mov_b32_e32 v4, v41
	v_mad_u64_u32 v[4:5], s[0:1], s3, v37, v[4:5]
	v_add_co_u32_e64 v0, s[0:1], v18, v0
	v_mov_b32_e32 v41, v4
	v_lshlrev_b64 v[4:5], 4, v[40:41]
	v_addc_co_u32_e64 v1, s[0:1], v19, v1, s[0:1]
	v_add_co_u32_e64 v155, s[0:1], v18, v4
	v_addc_co_u32_e64 v156, s[0:1], v19, v5, s[0:1]
	global_load_dwordx4 v[112:115], v[2:3], off
	global_load_dwordx4 v[104:107], v[6:7], off
	;; [unrolled: 1-line block ×13, first 2 shown]
                                        ; kill: killed $vgpr12 killed $vgpr13
                                        ; kill: killed $vgpr28 killed $vgpr29
                                        ; kill: killed $vgpr6 killed $vgpr7
                                        ; kill: killed $vgpr22 killed $vgpr23
                                        ; kill: killed $vgpr14 killed $vgpr15
                                        ; kill: killed $vgpr30 killed $vgpr31
                                        ; kill: killed $vgpr8 killed $vgpr9
                                        ; kill: killed $vgpr24 killed $vgpr25
                                        ; kill: killed $vgpr16 killed $vgpr17
                                        ; kill: killed $vgpr10 killed $vgpr11
                                        ; kill: killed $vgpr2 killed $vgpr3
                                        ; kill: killed $vgpr26 killed $vgpr27
                                        ; kill: killed $vgpr20 killed $vgpr21
	global_load_dwordx4 v[56:59], v[32:33], off
	global_load_dwordx4 v[52:55], v[34:35], off
	global_load_dwordx4 v[48:51], v[131:132], off
	global_load_dwordx4 v[44:47], v[133:134], off
	global_load_dwordx4 v[40:43], v[135:136], off
	global_load_dwordx4 v[36:39], v[137:138], off
	global_load_dwordx4 v[28:31], v[141:142], off
                                        ; kill: killed $vgpr137 killed $vgpr138
                                        ; kill: killed $vgpr131 killed $vgpr132
                                        ; kill: killed $vgpr141 killed $vgpr142
                                        ; kill: killed $vgpr133 killed $vgpr134
                                        ; kill: killed $vgpr32 killed $vgpr33
                                        ; kill: killed $vgpr135 killed $vgpr136
                                        ; kill: killed $vgpr34 killed $vgpr35
	global_load_dwordx4 v[32:35], v[143:144], off
	global_load_dwordx4 v[24:27], v[145:146], off
	global_load_dwordx4 v[16:19], v[147:148], off
                                        ; kill: killed $vgpr143 killed $vgpr144
                                        ; kill: killed $vgpr145 killed $vgpr146
                                        ; kill: killed $vgpr147 killed $vgpr148
	global_load_dwordx4 v[20:23], v[149:150], off
	global_load_dwordx4 v[4:7], v[151:152], off
                                        ; kill: killed $vgpr149 killed $vgpr150
                                        ; kill: killed $vgpr151 killed $vgpr152
	global_load_dwordx4 v[12:15], v[153:154], off
	global_load_dwordx4 v[8:11], v[0:1], off
	s_nop 0
	global_load_dwordx4 v[0:3], v[155:156], off
.LBB0_13:
	s_or_b64 exec, exec, s[4:5]
	s_waitcnt vmcnt(27)
	v_add_f64 v[131:132], v[112:113], v[116:117]
	v_add_f64 v[133:134], v[116:117], v[108:109]
	v_add_f64 v[135:136], v[118:119], -v[114:115]
	v_add_f64 v[137:138], v[114:115], v[118:119]
	v_add_f64 v[118:119], v[118:119], v[110:111]
	s_mov_b32 s0, 0xe8584caa
	s_mov_b32 s1, 0x3febb67a
	;; [unrolled: 1-line block ×3, first 2 shown]
	v_fma_f64 v[108:109], v[131:132], -0.5, v[108:109]
	s_mov_b32 s4, s0
	v_add_f64 v[116:117], v[116:117], -v[112:113]
	s_waitcnt vmcnt(25)
	v_add_f64 v[131:132], v[100:101], v[104:105]
	s_waitcnt vmcnt(24)
	v_add_f64 v[141:142], v[96:97], v[100:101]
	v_fma_f64 v[110:111], v[137:138], -0.5, v[110:111]
	v_add_f64 v[112:113], v[112:113], v[133:134]
	v_add_f64 v[114:115], v[114:115], v[118:119]
	v_fma_f64 v[133:134], v[135:136], s[0:1], v[108:109]
	v_fma_f64 v[108:109], v[135:136], s[4:5], v[108:109]
	v_add_f64 v[118:119], v[98:99], v[102:103]
	v_add_f64 v[135:136], v[102:103], -v[98:99]
	v_add_f64 v[102:103], v[102:103], v[106:107]
	v_fma_f64 v[104:105], v[141:142], -0.5, v[104:105]
	v_fma_f64 v[141:142], v[116:117], s[4:5], v[110:111]
	v_fma_f64 v[110:111], v[116:117], s[0:1], v[110:111]
	v_add_f64 v[116:117], v[96:97], v[131:132]
	s_waitcnt vmcnt(21)
	v_add_f64 v[131:132], v[84:85], v[88:89]
	v_fma_f64 v[106:107], v[118:119], -0.5, v[106:107]
	v_add_f64 v[96:97], v[100:101], -v[96:97]
	v_add_f64 v[118:119], v[88:89], v[92:93]
	v_add_f64 v[143:144], v[98:99], v[102:103]
	;; [unrolled: 1-line block ×3, first 2 shown]
	v_add_f64 v[102:103], v[90:91], -v[86:87]
	v_add_f64 v[90:91], v[90:91], v[94:95]
	v_fma_f64 v[92:93], v[131:132], -0.5, v[92:93]
	v_fma_f64 v[100:101], v[135:136], s[0:1], v[104:105]
	v_fma_f64 v[145:146], v[96:97], s[4:5], v[106:107]
	;; [unrolled: 1-line block ×3, first 2 shown]
	v_add_f64 v[96:97], v[84:85], v[118:119]
	v_fma_f64 v[94:95], v[98:99], -0.5, v[94:95]
	v_add_f64 v[84:85], v[88:89], -v[84:85]
	s_waitcnt vmcnt(19)
	v_add_f64 v[98:99], v[76:77], v[80:81]
	v_add_f64 v[86:87], v[86:87], v[90:91]
	s_waitcnt vmcnt(18)
	v_add_f64 v[90:91], v[74:75], v[78:79]
	v_add_f64 v[106:107], v[72:73], v[76:77]
	v_fma_f64 v[88:89], v[102:103], s[0:1], v[92:93]
	v_fma_f64 v[92:93], v[102:103], s[4:5], v[92:93]
	v_add_f64 v[102:103], v[78:79], -v[74:75]
	v_fma_f64 v[149:150], v[84:85], s[4:5], v[94:95]
	v_fma_f64 v[84:85], v[84:85], s[0:1], v[94:95]
	v_add_f64 v[78:79], v[78:79], v[82:83]
	v_add_f64 v[94:95], v[72:73], v[98:99]
	s_waitcnt vmcnt(15)
	v_add_f64 v[98:99], v[60:61], v[64:65]
	v_fma_f64 v[82:83], v[90:91], -0.5, v[82:83]
	v_add_f64 v[72:73], v[76:77], -v[72:73]
	v_add_f64 v[90:91], v[64:65], v[68:69]
	v_fma_f64 v[80:81], v[106:107], -0.5, v[80:81]
	v_fma_f64 v[104:105], v[135:136], s[4:5], v[104:105]
	v_add_f64 v[74:75], v[74:75], v[78:79]
	v_add_f64 v[78:79], v[62:63], v[66:67]
	v_fma_f64 v[68:69], v[98:99], -0.5, v[68:69]
	v_add_f64 v[98:99], v[66:67], -v[62:63]
	v_fma_f64 v[151:152], v[72:73], s[4:5], v[82:83]
	v_fma_f64 v[72:73], v[72:73], s[0:1], v[82:83]
	v_add_f64 v[66:67], v[66:67], v[70:71]
	v_add_f64 v[82:83], v[60:61], v[90:91]
	s_waitcnt vmcnt(12)
	v_add_f64 v[90:91], v[48:49], v[52:53]
	v_fma_f64 v[70:71], v[78:79], -0.5, v[70:71]
	v_add_f64 v[78:79], v[52:53], v[56:57]
	v_add_f64 v[60:61], v[64:65], -v[60:61]
	v_fma_f64 v[76:77], v[102:103], s[0:1], v[80:81]
	v_fma_f64 v[64:65], v[98:99], s[0:1], v[68:69]
	v_add_f64 v[62:63], v[62:63], v[66:67]
	v_add_f64 v[66:67], v[50:51], v[54:55]
	v_fma_f64 v[56:57], v[90:91], -0.5, v[56:57]
	v_add_f64 v[90:91], v[54:55], -v[50:51]
	v_add_f64 v[54:55], v[54:55], v[58:59]
	v_fma_f64 v[153:154], v[60:61], s[4:5], v[70:71]
	v_fma_f64 v[60:61], v[60:61], s[0:1], v[70:71]
	v_add_f64 v[70:71], v[48:49], v[78:79]
	s_waitcnt vmcnt(9)
	v_add_f64 v[78:79], v[36:37], v[40:41]
	v_fma_f64 v[58:59], v[66:67], -0.5, v[58:59]
	v_add_f64 v[48:49], v[52:53], -v[48:49]
	v_add_f64 v[66:67], v[40:41], v[44:45]
	v_add_f64 v[155:156], v[50:51], v[54:55]
	;; [unrolled: 1-line block ×3, first 2 shown]
	v_add_f64 v[54:55], v[42:43], -v[38:39]
	v_add_f64 v[42:43], v[42:43], v[46:47]
	v_fma_f64 v[44:45], v[78:79], -0.5, v[44:45]
	v_fma_f64 v[80:81], v[102:103], s[4:5], v[80:81]
	v_fma_f64 v[78:79], v[48:49], s[4:5], v[58:59]
	v_fma_f64 v[58:59], v[48:49], s[0:1], v[58:59]
	v_add_f64 v[48:49], v[36:37], v[66:67]
	s_waitcnt vmcnt(6)
	v_add_f64 v[66:67], v[24:25], v[32:33]
	v_fma_f64 v[46:47], v[50:51], -0.5, v[46:47]
	v_add_f64 v[157:158], v[38:39], v[42:43]
	v_add_f64 v[38:39], v[26:27], v[34:35]
	;; [unrolled: 1-line block ×3, first 2 shown]
	v_add_f64 v[50:51], v[34:35], -v[26:27]
	v_add_f64 v[34:35], v[34:35], v[30:31]
	v_add_f64 v[32:33], v[32:33], -v[24:25]
	v_add_f64 v[36:37], v[40:41], -v[36:37]
	v_fma_f64 v[40:41], v[54:55], s[0:1], v[44:45]
	v_fma_f64 v[44:45], v[54:55], s[4:5], v[44:45]
	v_fma_f64 v[30:31], v[38:39], -0.5, v[30:31]
	s_waitcnt vmcnt(4)
	v_add_f64 v[38:39], v[20:21], v[16:17]
	s_waitcnt vmcnt(3)
	v_add_f64 v[54:55], v[4:5], v[20:21]
	v_add_f64 v[161:162], v[26:27], v[34:35]
	;; [unrolled: 1-line block ×3, first 2 shown]
	v_fma_f64 v[28:29], v[66:67], -0.5, v[28:29]
	v_add_f64 v[24:25], v[24:25], v[42:43]
	v_add_f64 v[42:43], v[22:23], -v[6:7]
	v_fma_f64 v[163:164], v[32:33], s[4:5], v[30:31]
	v_fma_f64 v[165:166], v[32:33], s[0:1], v[30:31]
	s_waitcnt vmcnt(0)
	v_add_f64 v[32:33], v[0:1], v[8:9]
	v_add_f64 v[30:31], v[4:5], v[38:39]
	;; [unrolled: 1-line block ×3, first 2 shown]
	v_fma_f64 v[16:17], v[54:55], -0.5, v[16:17]
	v_add_f64 v[22:23], v[22:23], v[18:19]
	v_fma_f64 v[18:19], v[26:27], -0.5, v[18:19]
	v_add_f64 v[4:5], v[20:21], -v[4:5]
	v_add_f64 v[20:21], v[8:9], v[12:13]
	v_fma_f64 v[12:13], v[32:33], -0.5, v[12:13]
	v_add_f64 v[26:27], v[10:11], -v[2:3]
	;; [unrolled: 3-line block ×3, first 2 shown]
	v_fma_f64 v[68:69], v[98:99], s[4:5], v[68:69]
	v_fma_f64 v[52:53], v[90:91], s[0:1], v[56:57]
	;; [unrolled: 1-line block ×8, first 2 shown]
	v_add_f64 v[0:1], v[0:1], v[20:21]
	v_fma_f64 v[4:5], v[26:27], s[0:1], v[12:13]
	v_fma_f64 v[56:57], v[90:91], s[4:5], v[56:57]
	;; [unrolled: 1-line block ×4, first 2 shown]
	v_add_f64 v[167:168], v[6:7], v[22:23]
	v_fma_f64 v[6:7], v[26:27], s[4:5], v[12:13]
	v_mad_u32_u24 v103, v122, 24, 0
	v_mad_i32_i24 v119, v123, 24, 0
	ds_write2_b64 v103, v[112:113], v[133:134] offset1:1
	ds_write_b64 v103, v[108:109] offset:16
	ds_write2_b64 v119, v[116:117], v[100:101] offset1:1
	ds_write_b64 v119, v[104:105] offset:16
	v_mad_i32_i24 v127, v124, 24, 0
	v_mad_i32_i24 v129, v125, 24, 0
	;; [unrolled: 1-line block ×3, first 2 shown]
	v_lshl_add_u32 v136, v122, 3, 0
	v_lshlrev_b32_e32 v117, 4, v124
	v_fma_f64 v[177:178], v[8:9], s[0:1], v[14:15]
	ds_write2_b64 v127, v[96:97], v[88:89] offset1:1
	ds_write_b64 v127, v[92:93] offset:16
	ds_write2_b64 v129, v[94:95], v[76:77] offset1:1
	ds_write_b64 v129, v[80:81] offset:16
	;; [unrolled: 2-line block ×3, first 2 shown]
	v_mad_i32_i24 v135, v128, 24, 0
	v_mad_i32_i24 v118, v130, 24, 0
	v_add_u32_e32 v64, 0x5208, v103
	v_add_u32_e32 v65, 0x5dc0, v103
	v_mad_i32_i24 v68, v140, 24, 0
	v_lshlrev_b32_e32 v95, 4, v130
	v_add_u32_e32 v91, 0x2800, v136
	v_add_u32_e32 v93, 0x4000, v136
	;; [unrolled: 1-line block ×3, first 2 shown]
	v_lshlrev_b32_e32 v116, 4, v123
	v_add_u32_e32 v130, 0x1800, v136
	v_add_u32_e32 v131, 0x3000, v136
	;; [unrolled: 1-line block ×4, first 2 shown]
	v_sub_u32_e32 v98, v127, v117
	v_lshlrev_b32_e32 v137, 4, v125
	v_add_u32_e32 v88, 0x2000, v136
	v_add_u32_e32 v90, 0x3800, v136
	;; [unrolled: 1-line block ×4, first 2 shown]
	v_lshlrev_b32_e32 v138, 4, v126
	v_lshlrev_b32_e32 v139, 4, v128
	s_movk_i32 s0, 0xab
	v_add_f64 v[173:174], v[2:3], v[10:11]
	v_fma_f64 v[175:176], v[8:9], s[4:5], v[14:15]
	ds_write2_b64 v135, v[70:71], v[52:53] offset1:1
	ds_write_b64 v135, v[56:57] offset:16
	ds_write2_b64 v118, v[48:49], v[40:41] offset1:1
	ds_write_b64 v118, v[44:45] offset:16
	;; [unrolled: 2-line block ×5, first 2 shown]
	s_waitcnt lgkmcnt(0)
	s_barrier
	ds_read_b64 v[38:39], v136
	v_sub_u32_e32 v96, v118, v95
	ds_read2_b64 v[8:11], v91 offset0:95 offset1:220
	ds_read2_b64 v[4:7], v93 offset0:77 offset1:202
	;; [unrolled: 1-line block ×3, first 2 shown]
	v_sub_u32_e32 v97, v119, v116
	ds_read2_b64 v[42:45], v130 offset0:107 offset1:232
	ds_read2_b64 v[46:49], v131 offset0:89 offset1:214
	;; [unrolled: 1-line block ×4, first 2 shown]
	v_sub_u32_e32 v99, v129, v137
	ds_read2_b64 v[24:27], v88 offset0:101 offset1:226
	ds_read2_b64 v[16:19], v90 offset0:83 offset1:208
	;; [unrolled: 1-line block ×4, first 2 shown]
	v_sub_u32_e32 v102, v134, v138
	v_sub_u32_e32 v106, v135, v139
	ds_read_b64 v[34:35], v98
	ds_read_b64 v[32:33], v99
	;; [unrolled: 1-line block ×6, first 2 shown]
	ds_read_b64 v[40:41], v136 offset:29000
	s_waitcnt lgkmcnt(0)
	s_barrier
	ds_write2_b64 v103, v[114:115], v[141:142] offset1:1
	ds_write_b64 v103, v[110:111] offset:16
	ds_write2_b64 v119, v[143:144], v[145:146] offset1:1
	ds_write_b64 v119, v[147:148] offset:16
	;; [unrolled: 2-line block ×10, first 2 shown]
	v_mul_lo_u16_sdwa v58, v122, s0 dst_sel:DWORD dst_unused:UNUSED_PAD src0_sel:BYTE_0 src1_sel:DWORD
	v_lshrrev_b16_e32 v65, 9, v58
	v_mul_lo_u16_e32 v58, 3, v65
	v_sub_u16_e32 v66, v122, v58
	v_mov_b32_e32 v64, 6
	v_lshlrev_b32_sdwa v62, v64, v66 dst_sel:DWORD dst_unused:UNUSED_PAD src0_sel:DWORD src1_sel:BYTE_0
	s_waitcnt lgkmcnt(0)
	s_barrier
	global_load_dwordx4 v[58:61], v62, s[8:9]
	global_load_dwordx4 v[77:80], v62, s[8:9] offset:16
	global_load_dwordx4 v[81:84], v62, s[8:9] offset:32
	;; [unrolled: 1-line block ×3, first 2 shown]
	v_mul_lo_u16_sdwa v62, v123, s0 dst_sel:DWORD dst_unused:UNUSED_PAD src0_sel:BYTE_0 src1_sel:DWORD
	v_lshrrev_b16_e32 v67, 9, v62
	v_mul_lo_u16_e32 v62, 3, v67
	v_sub_u16_e32 v68, v123, v62
	v_lshlrev_b32_sdwa v62, v64, v68 dst_sel:DWORD dst_unused:UNUSED_PAD src0_sel:DWORD src1_sel:BYTE_0
	global_load_dwordx4 v[111:114], v62, s[8:9]
	global_load_dwordx4 v[141:144], v62, s[8:9] offset:16
	s_mov_b32 s0, 0xaaab
	v_mul_u32_u24_sdwa v63, v124, s0 dst_sel:DWORD dst_unused:UNUSED_PAD src0_sel:WORD_0 src1_sel:DWORD
	v_lshrrev_b32_e32 v69, 17, v63
	v_mul_lo_u16_e32 v63, 3, v69
	v_sub_u16_e32 v70, v124, v63
	v_lshlrev_b32_e32 v63, 6, v70
	global_load_dwordx4 v[145:148], v63, s[8:9]
	global_load_dwordx4 v[149:152], v62, s[8:9] offset:32
	global_load_dwordx4 v[153:156], v62, s[8:9] offset:48
	;; [unrolled: 1-line block ×5, first 2 shown]
	v_mul_u32_u24_sdwa v62, v125, s0 dst_sel:DWORD dst_unused:UNUSED_PAD src0_sel:WORD_0 src1_sel:DWORD
	v_lshrrev_b32_e32 v71, 17, v62
	v_mul_lo_u16_e32 v62, 3, v71
	v_sub_u16_e32 v72, v125, v62
	v_lshlrev_b32_e32 v62, 6, v72
	ds_read_b64 v[103:104], v136
	ds_read2_b64 v[169:172], v91 offset0:95 offset1:220
	ds_read2_b64 v[173:176], v93 offset0:77 offset1:202
	;; [unrolled: 1-line block ×4, first 2 shown]
	global_load_dwordx4 v[185:188], v62, s[8:9] offset:16
	global_load_dwordx4 v[189:192], v62, s[8:9]
	ds_read2_b64 v[193:196], v131 offset0:89 offset1:214
	ds_read_b64 v[233:234], v97
	ds_read_b64 v[75:76], v96
	ds_read2_b64 v[197:200], v132 offset0:71 offset1:196
	ds_read_b64 v[235:236], v136 offset:29000
	global_load_dwordx4 v[201:204], v62, s[8:9] offset:48
	global_load_dwordx4 v[205:208], v62, s[8:9] offset:32
	s_mov_b32 s4, 0x134454ff
	s_mov_b32 s5, 0x3fee6f0e
	;; [unrolled: 1-line block ×10, first 2 shown]
	v_add_u32_e32 v115, 0x4400, v136
	s_movk_i32 s18, 0x2000
	s_waitcnt vmcnt(15) lgkmcnt(2)
	v_mul_f64 v[85:86], v[75:76], v[60:61]
	v_mul_f64 v[217:218], v[100:101], v[60:61]
	v_mul_u32_u24_sdwa v60, v126, s0 dst_sel:DWORD dst_unused:UNUSED_PAD src0_sel:WORD_0 src1_sel:DWORD
	v_lshrrev_b32_e32 v73, 17, v60
	v_mul_lo_u16_e32 v60, 3, v73
	v_sub_u16_e32 v74, v126, v60
	v_lshlrev_b32_e32 v87, 6, v74
	s_waitcnt vmcnt(14)
	v_mul_f64 v[219:220], v[171:172], v[79:80]
	global_load_dwordx4 v[60:63], v87, s[8:9] offset:16
	global_load_dwordx4 v[209:212], v87, s[8:9]
	ds_read2_b64 v[213:216], v133 offset0:53 offset1:178
	v_fma_f64 v[100:101], v[100:101], v[58:59], -v[85:86]
	v_fma_f64 v[237:238], v[75:76], v[58:59], v[217:218]
	s_waitcnt vmcnt(15)
	v_mul_f64 v[229:230], v[6:7], v[83:84]
	v_mul_u32_u24_sdwa v75, v128, s0 dst_sel:DWORD dst_unused:UNUSED_PAD src0_sel:WORD_0 src1_sel:DWORD
	v_lshrrev_b32_e32 v75, 17, v75
	v_fma_f64 v[58:59], v[10:11], v[77:78], -v[219:220]
	global_load_dwordx4 v[217:220], v87, s[8:9] offset:48
	global_load_dwordx4 v[221:224], v87, s[8:9] offset:32
	v_mul_f64 v[10:11], v[10:11], v[79:80]
	v_mul_f64 v[79:80], v[175:176], v[83:84]
	v_mul_lo_u16_e32 v76, 3, v75
	v_sub_u16_e32 v76, v128, v76
	v_lshlrev_b32_e32 v87, 6, v76
	global_load_dwordx4 v[83:86], v87, s[8:9] offset:16
	global_load_dwordx4 v[225:228], v87, s[8:9]
	s_movk_i32 s0, 0x89
	v_fma_f64 v[171:172], v[171:172], v[77:78], v[10:11]
	v_fma_f64 v[239:240], v[6:7], v[81:82], -v[79:80]
	v_fma_f64 v[81:82], v[175:176], v[81:82], v[229:230]
	global_load_dwordx4 v[77:80], v87, s[8:9] offset:48
	global_load_dwordx4 v[229:232], v87, s[8:9] offset:32
	s_waitcnt vmcnt(20)
	v_mul_f64 v[10:11], v[179:180], v[109:110]
	v_mul_f64 v[6:7], v[2:3], v[109:110]
	s_waitcnt vmcnt(19)
	v_mul_f64 v[175:176], v[181:182], v[113:114]
	v_mul_f64 v[113:114], v[42:43], v[113:114]
	v_fma_f64 v[241:242], v[2:3], v[107:108], -v[10:11]
	s_waitcnt vmcnt(18)
	v_mul_f64 v[2:3], v[193:194], v[143:144]
	v_fma_f64 v[179:180], v[179:180], v[107:108], v[6:7]
	v_mul_f64 v[6:7], v[46:47], v[143:144]
	s_waitcnt vmcnt(17)
	v_mul_f64 v[10:11], v[183:184], v[147:148]
	v_fma_f64 v[175:176], v[42:43], v[111:112], -v[175:176]
	v_fma_f64 v[181:182], v[181:182], v[111:112], v[113:114]
	v_mul_f64 v[111:112], v[44:45], v[147:148]
	ds_read2_b64 v[107:110], v88 offset0:101 offset1:226
	v_fma_f64 v[147:148], v[46:47], v[141:142], -v[2:3]
	s_waitcnt vmcnt(16) lgkmcnt(3)
	v_mul_f64 v[2:3], v[197:198], v[151:152]
	v_fma_f64 v[193:194], v[193:194], v[141:142], v[6:7]
	v_mul_f64 v[6:7], v[50:51], v[151:152]
	v_fma_f64 v[151:152], v[44:45], v[145:146], -v[10:11]
	s_waitcnt vmcnt(15) lgkmcnt(1)
	v_mul_f64 v[10:11], v[213:214], v[155:156]
	v_mul_f64 v[46:47], v[54:55], v[155:156]
	v_fma_f64 v[145:146], v[183:184], v[145:146], v[111:112]
	ds_read2_b64 v[42:45], v90 offset0:83 offset1:208
	v_fma_f64 v[155:156], v[50:51], v[149:150], -v[2:3]
	s_waitcnt vmcnt(14)
	v_mul_f64 v[2:3], v[195:196], v[159:160]
	v_fma_f64 v[149:150], v[197:198], v[149:150], v[6:7]
	s_waitcnt vmcnt(13)
	v_mul_f64 v[6:7], v[199:200], v[163:164]
	v_mul_f64 v[50:51], v[48:49], v[159:160]
	v_fma_f64 v[159:160], v[54:55], v[153:154], -v[10:11]
	v_fma_f64 v[153:154], v[213:214], v[153:154], v[46:47]
	v_mul_f64 v[46:47], v[52:53], v[163:164]
	ds_read2_b64 v[141:144], v92 offset0:47 offset1:172
	v_fma_f64 v[183:184], v[48:49], v[157:158], -v[2:3]
	s_waitcnt vmcnt(12)
	v_mul_f64 v[48:49], v[56:57], v[167:168]
	v_fma_f64 v[163:164], v[52:53], v[161:162], -v[6:7]
	v_mul_f64 v[6:7], v[215:216], v[167:168]
	v_fma_f64 v[157:158], v[195:196], v[157:158], v[50:51]
	s_waitcnt vmcnt(11)
	v_mul_f64 v[50:51], v[16:17], v[187:188]
	v_fma_f64 v[161:162], v[199:200], v[161:162], v[46:47]
	s_waitcnt vmcnt(10) lgkmcnt(2)
	v_mul_f64 v[46:47], v[107:108], v[191:192]
	s_waitcnt vmcnt(8)
	v_mul_f64 v[54:55], v[20:21], v[207:208]
	ds_read2_b64 v[111:114], v89 offset0:65 offset1:190
	ds_read_b64 v[167:168], v98
	ds_read_b64 v[195:196], v99
	;; [unrolled: 1-line block ×4, first 2 shown]
	v_fma_f64 v[197:198], v[56:57], v[165:166], -v[6:7]
	v_mul_f64 v[6:7], v[24:25], v[191:192]
	v_fma_f64 v[165:166], v[215:216], v[165:166], v[48:49]
	s_waitcnt lgkmcnt(6)
	v_mul_f64 v[48:49], v[42:43], v[187:188]
	v_fma_f64 v[187:188], v[24:25], v[189:190], -v[46:47]
	s_waitcnt lgkmcnt(5)
	v_mul_f64 v[24:25], v[141:142], v[203:204]
	v_mul_f64 v[46:47], v[12:13], v[203:204]
	s_waitcnt lgkmcnt(4)
	v_mul_f64 v[52:53], v[111:112], v[207:208]
	v_fma_f64 v[111:112], v[111:112], v[205:206], v[54:55]
	v_fma_f64 v[107:108], v[107:108], v[189:190], v[6:7]
	s_waitcnt lgkmcnt(0)
	v_fma_f64 v[189:190], v[16:17], v[185:186], -v[48:49]
	s_waitcnt vmcnt(7)
	v_mul_f64 v[16:17], v[44:45], v[62:63]
	s_waitcnt vmcnt(6)
	v_mul_f64 v[6:7], v[109:110], v[211:212]
	v_fma_f64 v[199:200], v[12:13], v[201:202], -v[24:25]
	v_fma_f64 v[141:142], v[141:142], v[201:202], v[46:47]
	v_mul_f64 v[12:13], v[26:27], v[211:212]
	v_mul_f64 v[24:25], v[18:19], v[62:63]
	v_fma_f64 v[185:186], v[42:43], v[185:186], v[50:51]
	v_fma_f64 v[191:192], v[20:21], v[205:206], -v[52:53]
	v_fma_f64 v[42:43], v[18:19], v[60:61], -v[16:17]
	s_waitcnt vmcnt(4)
	v_mul_f64 v[46:47], v[113:114], v[223:224]
	v_mul_f64 v[48:49], v[22:23], v[223:224]
	v_fma_f64 v[54:55], v[26:27], v[209:210], -v[6:7]
	v_mul_f64 v[6:7], v[143:144], v[219:220]
	v_mul_f64 v[26:27], v[14:15], v[219:220]
	v_fma_f64 v[20:21], v[109:110], v[209:210], v[12:13]
	v_fma_f64 v[18:19], v[44:45], v[60:61], v[24:25]
	s_waitcnt vmcnt(2)
	v_mul_f64 v[12:13], v[169:170], v[227:228]
	v_fma_f64 v[44:45], v[22:23], v[221:222], -v[46:47]
	v_fma_f64 v[22:23], v[113:114], v[221:222], v[48:49]
	v_mul_f64 v[24:25], v[4:5], v[85:86]
	v_fma_f64 v[62:63], v[14:15], v[217:218], -v[6:7]
	v_mul_f64 v[14:15], v[173:174], v[85:86]
	v_add_f64 v[46:47], v[58:59], v[239:240]
	s_waitcnt vmcnt(0)
	v_mul_f64 v[48:49], v[177:178], v[231:232]
	v_mul_f64 v[50:51], v[0:1], v[231:232]
	;; [unrolled: 1-line block ×3, first 2 shown]
	v_fma_f64 v[8:9], v[8:9], v[225:226], -v[12:13]
	v_add_f64 v[52:53], v[237:238], -v[179:180]
	v_add_f64 v[16:17], v[38:39], v[100:101]
	v_fma_f64 v[12:13], v[4:5], v[83:84], -v[14:15]
	v_fma_f64 v[4:5], v[173:174], v[83:84], v[24:25]
	v_fma_f64 v[46:47], v[46:47], -0.5, v[38:39]
	v_fma_f64 v[14:15], v[0:1], v[229:230], -v[48:49]
	v_fma_f64 v[0:1], v[177:178], v[229:230], v[50:51]
	v_mul_f64 v[24:25], v[235:236], v[79:80]
	v_mul_f64 v[50:51], v[40:41], v[79:80]
	v_add_f64 v[79:80], v[100:101], v[241:242]
	v_add_f64 v[60:61], v[171:172], -v[81:82]
	v_add_f64 v[83:84], v[100:101], -v[58:59]
	v_fma_f64 v[56:57], v[52:53], s[4:5], v[46:47]
	v_add_f64 v[85:86], v[241:242], -v[239:240]
	v_fma_f64 v[46:47], v[52:53], s[10:11], v[46:47]
	v_fma_f64 v[48:49], v[40:41], v[77:78], -v[24:25]
	v_fma_f64 v[24:25], v[235:236], v[77:78], v[50:51]
	v_fma_f64 v[38:39], v[79:80], -0.5, v[38:39]
	v_add_f64 v[79:80], v[58:59], -v[100:101]
	v_add_f64 v[100:101], v[100:101], -v[241:242]
	v_fma_f64 v[40:41], v[60:61], s[6:7], v[56:57]
	v_add_f64 v[50:51], v[83:84], v[85:86]
	v_add_f64 v[56:57], v[171:172], v[81:82]
	v_add_f64 v[83:84], v[239:240], -v[241:242]
	v_add_f64 v[85:86], v[103:104], v[237:238]
	v_fma_f64 v[77:78], v[60:61], s[10:11], v[38:39]
	v_fma_f64 v[38:39], v[60:61], s[4:5], v[38:39]
	;; [unrolled: 1-line block ×3, first 2 shown]
	v_add_f64 v[113:114], v[58:59], -v[239:240]
	v_add_f64 v[16:17], v[16:17], v[58:59]
	v_fma_f64 v[109:110], v[56:57], -0.5, v[103:104]
	v_fma_f64 v[56:57], v[50:51], s[16:17], v[40:41]
	v_fma_f64 v[26:27], v[143:144], v[217:218], v[26:27]
	;; [unrolled: 1-line block ×3, first 2 shown]
	v_add_f64 v[77:78], v[79:80], v[83:84]
	v_add_f64 v[83:84], v[237:238], v[179:180]
	v_fma_f64 v[38:39], v[52:53], s[14:15], v[38:39]
	v_add_f64 v[79:80], v[85:86], v[171:172]
	v_fma_f64 v[85:86], v[100:101], s[10:11], v[109:110]
	v_fma_f64 v[52:53], v[50:51], s[16:17], v[46:47]
	v_add_f64 v[50:51], v[237:238], -v[171:172]
	v_add_f64 v[143:144], v[181:182], -v[153:154]
	v_fma_f64 v[58:59], v[77:78], s[16:17], v[60:61]
	v_fma_f64 v[40:41], v[83:84], -0.5, v[103:104]
	v_fma_f64 v[60:61], v[77:78], s[16:17], v[38:39]
	v_add_f64 v[38:39], v[79:80], v[81:82]
	v_fma_f64 v[46:47], v[113:114], s[14:15], v[85:86]
	v_add_f64 v[77:78], v[147:148], v[155:156]
	v_add_f64 v[79:80], v[179:180], -v[81:82]
	v_fma_f64 v[83:84], v[100:101], s[4:5], v[109:110]
	v_add_f64 v[103:104], v[171:172], -v[237:238]
	v_fma_f64 v[85:86], v[113:114], s[4:5], v[40:41]
	v_fma_f64 v[40:41], v[113:114], s[10:11], v[40:41]
	v_add_f64 v[81:82], v[81:82], -v[179:180]
	v_add_f64 v[109:110], v[36:37], v[175:176]
	v_fma_f64 v[77:78], v[77:78], -0.5, v[36:37]
	v_add_f64 v[50:51], v[50:51], v[79:80]
	v_fma_f64 v[79:80], v[113:114], s[6:7], v[83:84]
	v_add_f64 v[113:114], v[193:194], -v[149:150]
	v_fma_f64 v[83:84], v[100:101], s[14:15], v[85:86]
	v_fma_f64 v[85:86], v[100:101], s[6:7], v[40:41]
	v_add_f64 v[100:101], v[175:176], v[159:160]
	v_add_f64 v[81:82], v[103:104], v[81:82]
	;; [unrolled: 1-line block ×3, first 2 shown]
	v_fma_f64 v[109:110], v[143:144], s[4:5], v[77:78]
	v_fma_f64 v[40:41], v[50:51], s[16:17], v[79:80]
	;; [unrolled: 1-line block ×5, first 2 shown]
	v_fma_f64 v[79:80], v[100:101], -0.5, v[36:37]
	v_fma_f64 v[50:51], v[81:82], s[16:17], v[83:84]
	v_fma_f64 v[36:37], v[81:82], s[16:17], v[85:86]
	v_add_f64 v[81:82], v[103:104], v[155:156]
	v_fma_f64 v[83:84], v[113:114], s[6:7], v[109:110]
	v_add_f64 v[85:86], v[175:176], -v[147:148]
	v_add_f64 v[100:101], v[193:194], v[149:150]
	v_add_f64 v[103:104], v[159:160], -v[155:156]
	v_fma_f64 v[109:110], v[113:114], s[10:11], v[79:80]
	v_add_f64 v[169:170], v[147:148], -v[175:176]
	v_add_f64 v[171:172], v[155:156], -v[159:160]
	v_fma_f64 v[79:80], v[113:114], s[4:5], v[79:80]
	v_add_f64 v[173:174], v[233:234], v[181:182]
	v_add_f64 v[175:176], v[175:176], -v[159:160]
	v_fma_f64 v[100:101], v[100:101], -0.5, v[233:234]
	v_add_f64 v[85:86], v[85:86], v[103:104]
	v_fma_f64 v[77:78], v[113:114], s[14:15], v[77:78]
	v_fma_f64 v[103:104], v[143:144], s[6:7], v[109:110]
	v_add_f64 v[109:110], v[169:170], v[171:172]
	v_fma_f64 v[79:80], v[143:144], s[14:15], v[79:80]
	v_add_f64 v[113:114], v[181:182], v[153:154]
	v_add_f64 v[143:144], v[173:174], v[193:194]
	v_fma_f64 v[169:170], v[175:176], s[10:11], v[100:101]
	v_add_f64 v[147:148], v[147:148], -v[155:156]
	v_add_f64 v[81:82], v[81:82], v[159:160]
	v_fma_f64 v[83:84], v[85:86], s[16:17], v[83:84]
	v_fma_f64 v[77:78], v[85:86], s[16:17], v[77:78]
	;; [unrolled: 1-line block ×3, first 2 shown]
	v_fma_f64 v[103:104], v[113:114], -0.5, v[233:234]
	v_fma_f64 v[79:80], v[109:110], s[16:17], v[79:80]
	v_add_f64 v[109:110], v[143:144], v[149:150]
	v_add_f64 v[143:144], v[181:182], -v[193:194]
	v_add_f64 v[155:156], v[183:184], v[163:164]
	v_add_f64 v[159:160], v[153:154], -v[149:150]
	v_fma_f64 v[113:114], v[147:148], s[14:15], v[169:170]
	v_fma_f64 v[100:101], v[175:176], s[4:5], v[100:101]
	;; [unrolled: 1-line block ×3, first 2 shown]
	v_add_f64 v[171:172], v[193:194], -v[181:182]
	v_add_f64 v[149:150], v[149:150], -v[153:154]
	v_fma_f64 v[103:104], v[147:148], s[10:11], v[103:104]
	v_add_f64 v[173:174], v[34:35], v[151:152]
	v_fma_f64 v[155:156], v[155:156], -0.5, v[34:35]
	v_add_f64 v[177:178], v[145:146], -v[165:166]
	v_add_f64 v[143:144], v[143:144], v[159:160]
	v_add_f64 v[159:160], v[151:152], v[197:198]
	v_fma_f64 v[100:101], v[147:148], s[6:7], v[100:101]
	v_fma_f64 v[147:148], v[175:176], s[14:15], v[169:170]
	v_add_f64 v[149:150], v[171:172], v[149:150]
	v_fma_f64 v[103:104], v[175:176], s[6:7], v[103:104]
	v_add_f64 v[169:170], v[173:174], v[183:184]
	v_fma_f64 v[171:172], v[177:178], s[4:5], v[155:156]
	v_add_f64 v[173:174], v[157:158], -v[161:162]
	v_fma_f64 v[34:35], v[159:160], -0.5, v[34:35]
	v_add_f64 v[38:39], v[38:39], v[179:180]
	v_add_f64 v[153:154], v[109:110], v[153:154]
	v_fma_f64 v[113:114], v[143:144], s[16:17], v[113:114]
	v_fma_f64 v[143:144], v[143:144], s[16:17], v[100:101]
	;; [unrolled: 1-line block ×4, first 2 shown]
	v_add_f64 v[100:101], v[169:170], v[163:164]
	v_fma_f64 v[109:110], v[173:174], s[6:7], v[171:172]
	v_add_f64 v[149:150], v[151:152], -v[183:184]
	v_add_f64 v[159:160], v[157:158], v[161:162]
	v_add_f64 v[169:170], v[197:198], -v[163:164]
	v_fma_f64 v[155:156], v[177:178], s[10:11], v[155:156]
	v_fma_f64 v[171:172], v[173:174], s[10:11], v[34:35]
	v_add_f64 v[175:176], v[183:184], -v[151:152]
	v_add_f64 v[179:180], v[163:164], -v[197:198]
	v_fma_f64 v[34:35], v[173:174], s[4:5], v[34:35]
	v_add_f64 v[181:182], v[167:168], v[145:146]
	v_fma_f64 v[159:160], v[159:160], -0.5, v[167:168]
	v_add_f64 v[151:152], v[151:152], -v[197:198]
	v_add_f64 v[149:150], v[149:150], v[169:170]
	v_fma_f64 v[155:156], v[173:174], s[14:15], v[155:156]
	v_fma_f64 v[169:170], v[177:178], s[6:7], v[171:172]
	v_add_f64 v[171:172], v[175:176], v[179:180]
	v_fma_f64 v[34:35], v[177:178], s[14:15], v[34:35]
	v_add_f64 v[173:174], v[145:146], v[165:166]
	v_add_f64 v[175:176], v[181:182], v[157:158]
	v_fma_f64 v[177:178], v[151:152], s[10:11], v[159:160]
	v_add_f64 v[163:164], v[183:184], -v[163:164]
	v_add_f64 v[179:180], v[100:101], v[197:198]
	v_fma_f64 v[109:110], v[149:150], s[16:17], v[109:110]
	v_fma_f64 v[149:150], v[149:150], s[16:17], v[155:156]
	;; [unrolled: 1-line block ×3, first 2 shown]
	v_fma_f64 v[100:101], v[173:174], -0.5, v[167:168]
	v_fma_f64 v[34:35], v[171:172], s[16:17], v[34:35]
	v_add_f64 v[167:168], v[175:176], v[161:162]
	v_add_f64 v[171:172], v[145:146], -v[157:158]
	v_add_f64 v[173:174], v[189:190], v[191:192]
	v_add_f64 v[175:176], v[165:166], -v[161:162]
	v_add_f64 v[145:146], v[157:158], -v[145:146]
	;; [unrolled: 1-line block ×3, first 2 shown]
	v_fma_f64 v[169:170], v[163:164], s[14:15], v[177:178]
	v_fma_f64 v[159:160], v[151:152], s[4:5], v[159:160]
	;; [unrolled: 1-line block ×4, first 2 shown]
	v_add_f64 v[161:162], v[32:33], v[187:188]
	v_fma_f64 v[173:174], v[173:174], -0.5, v[32:33]
	v_add_f64 v[181:182], v[107:108], -v[141:142]
	v_add_f64 v[171:172], v[171:172], v[175:176]
	v_add_f64 v[145:146], v[145:146], v[157:158]
	;; [unrolled: 1-line block ×3, first 2 shown]
	v_fma_f64 v[159:160], v[163:164], s[6:7], v[159:160]
	v_fma_f64 v[163:164], v[151:152], s[14:15], v[177:178]
	;; [unrolled: 1-line block ×3, first 2 shown]
	v_add_f64 v[151:152], v[161:162], v[189:190]
	v_fma_f64 v[161:162], v[181:182], s[4:5], v[173:174]
	v_add_f64 v[175:176], v[185:186], -v[111:112]
	v_add_f64 v[165:166], v[167:168], v[165:166]
	v_fma_f64 v[167:168], v[171:172], s[16:17], v[169:170]
	v_fma_f64 v[32:33], v[157:158], -0.5, v[32:33]
	v_add_f64 v[169:170], v[185:186], v[111:112]
	v_fma_f64 v[159:160], v[171:172], s[16:17], v[159:160]
	v_fma_f64 v[163:164], v[145:146], s[16:17], v[163:164]
	v_fma_f64 v[145:146], v[145:146], s[16:17], v[100:101]
	v_add_f64 v[100:101], v[151:152], v[191:192]
	v_fma_f64 v[151:152], v[175:176], s[6:7], v[161:162]
	v_add_f64 v[157:158], v[187:188], -v[189:190]
	v_add_f64 v[161:162], v[195:196], v[107:108]
	v_add_f64 v[171:172], v[199:200], -v[191:192]
	v_fma_f64 v[173:174], v[181:182], s[10:11], v[173:174]
	v_fma_f64 v[177:178], v[175:176], s[10:11], v[32:33]
	v_add_f64 v[183:184], v[189:190], -v[187:188]
	v_add_f64 v[193:194], v[191:192], -v[199:200]
	v_fma_f64 v[32:33], v[175:176], s[4:5], v[32:33]
	v_fma_f64 v[169:170], v[169:170], -0.5, v[195:196]
	v_add_f64 v[187:188], v[187:188], -v[199:200]
	v_add_f64 v[161:162], v[161:162], v[185:186]
	v_add_f64 v[157:158], v[157:158], v[171:172]
	v_fma_f64 v[171:172], v[175:176], s[14:15], v[173:174]
	v_fma_f64 v[173:174], v[181:182], s[6:7], v[177:178]
	v_add_f64 v[175:176], v[183:184], v[193:194]
	v_fma_f64 v[32:33], v[181:182], s[14:15], v[32:33]
	v_add_f64 v[177:178], v[107:108], v[141:142]
	v_fma_f64 v[181:182], v[187:188], s[10:11], v[169:170]
	v_add_f64 v[183:184], v[189:190], -v[191:192]
	v_add_f64 v[161:162], v[161:162], v[111:112]
	v_add_f64 v[189:190], v[100:101], v[199:200]
	v_fma_f64 v[151:152], v[157:158], s[16:17], v[151:152]
	v_fma_f64 v[157:158], v[157:158], s[16:17], v[171:172]
	;; [unrolled: 1-line block ×4, first 2 shown]
	v_fma_f64 v[100:101], v[177:178], -0.5, v[195:196]
	v_fma_f64 v[173:174], v[183:184], s[14:15], v[181:182]
	v_add_f64 v[175:176], v[107:108], -v[185:186]
	v_add_f64 v[177:178], v[141:142], -v[111:112]
	v_add_f64 v[181:182], v[30:31], v[54:55]
	v_add_f64 v[107:108], v[185:186], -v[107:108]
	v_add_f64 v[111:112], v[111:112], -v[141:142]
	v_add_f64 v[161:162], v[161:162], v[141:142]
	v_fma_f64 v[169:170], v[187:188], s[4:5], v[169:170]
	v_add_f64 v[191:192], v[42:43], v[44:45]
	v_fma_f64 v[193:194], v[183:184], s[4:5], v[100:101]
	v_fma_f64 v[100:101], v[183:184], s[10:11], v[100:101]
	v_add_f64 v[141:142], v[175:176], v[177:178]
	v_add_f64 v[175:176], v[181:182], v[42:43]
	;; [unrolled: 1-line block ×4, first 2 shown]
	v_fma_f64 v[169:170], v[183:184], s[6:7], v[169:170]
	v_fma_f64 v[177:178], v[191:192], -0.5, v[30:31]
	v_add_f64 v[181:182], v[20:21], -v[26:27]
	v_fma_f64 v[183:184], v[187:188], s[14:15], v[193:194]
	v_fma_f64 v[100:101], v[187:188], s[6:7], v[100:101]
	v_add_f64 v[175:176], v[175:176], v[44:45]
	v_add_f64 v[185:186], v[18:19], -v[22:23]
	v_fma_f64 v[30:31], v[111:112], -0.5, v[30:31]
	v_fma_f64 v[173:174], v[141:142], s[16:17], v[173:174]
	v_fma_f64 v[141:142], v[141:142], s[16:17], v[169:170]
	;; [unrolled: 1-line block ×5, first 2 shown]
	v_add_f64 v[107:108], v[175:176], v[62:63]
	v_add_f64 v[100:101], v[54:55], -v[42:43]
	v_add_f64 v[111:112], v[62:63], -v[44:45]
	v_fma_f64 v[175:176], v[181:182], s[10:11], v[177:178]
	v_add_f64 v[177:178], v[10:11], v[20:21]
	v_add_f64 v[191:192], v[18:19], v[22:23]
	v_fma_f64 v[193:194], v[185:186], s[10:11], v[30:31]
	v_add_f64 v[195:196], v[42:43], -v[54:55]
	v_add_f64 v[197:198], v[44:45], -v[62:63]
	v_fma_f64 v[169:170], v[185:186], s[6:7], v[169:170]
	v_add_f64 v[100:101], v[100:101], v[111:112]
	v_fma_f64 v[111:112], v[185:186], s[14:15], v[175:176]
	v_fma_f64 v[30:31], v[185:186], s[4:5], v[30:31]
	v_add_f64 v[175:176], v[177:178], v[18:19]
	v_fma_f64 v[177:178], v[191:192], -0.5, v[10:11]
	v_add_f64 v[54:55], v[54:55], -v[62:63]
	v_fma_f64 v[62:63], v[181:182], s[6:7], v[193:194]
	v_add_f64 v[185:186], v[195:196], v[197:198]
	v_fma_f64 v[169:170], v[100:101], s[16:17], v[169:170]
	v_fma_f64 v[111:112], v[100:101], s[16:17], v[111:112]
	;; [unrolled: 1-line block ×3, first 2 shown]
	v_add_f64 v[100:101], v[175:176], v[22:23]
	v_add_f64 v[175:176], v[20:21], v[26:27]
	v_fma_f64 v[181:182], v[54:55], s[10:11], v[177:178]
	v_add_f64 v[42:43], v[42:43], -v[44:45]
	v_fma_f64 v[44:45], v[185:186], s[16:17], v[62:63]
	v_add_f64 v[62:63], v[12:13], v[14:15]
	v_add_f64 v[191:192], v[20:21], -v[18:19]
	v_add_f64 v[193:194], v[26:27], -v[22:23]
	v_fma_f64 v[30:31], v[185:186], s[16:17], v[30:31]
	v_fma_f64 v[10:11], v[175:176], -0.5, v[10:11]
	v_add_f64 v[175:176], v[100:101], v[26:27]
	v_fma_f64 v[100:101], v[42:43], s[14:15], v[181:182]
	v_add_f64 v[181:182], v[28:29], v[8:9]
	v_fma_f64 v[62:63], v[62:63], -0.5, v[28:29]
	v_add_f64 v[185:186], v[6:7], -v[24:25]
	v_add_f64 v[191:192], v[191:192], v[193:194]
	v_fma_f64 v[177:178], v[54:55], s[4:5], v[177:178]
	v_fma_f64 v[193:194], v[42:43], s[4:5], v[10:11]
	v_add_f64 v[18:19], v[18:19], -v[20:21]
	v_add_f64 v[20:21], v[22:23], -v[26:27]
	v_fma_f64 v[10:11], v[42:43], s[10:11], v[10:11]
	v_add_f64 v[22:23], v[181:182], v[12:13]
	v_fma_f64 v[26:27], v[185:186], s[4:5], v[62:63]
	v_add_f64 v[181:182], v[4:5], -v[0:1]
	v_add_f64 v[195:196], v[8:9], -v[12:13]
	v_add_f64 v[197:198], v[48:49], -v[14:15]
	v_fma_f64 v[42:43], v[42:43], s[6:7], v[177:178]
	v_add_f64 v[177:178], v[8:9], v[48:49]
	v_fma_f64 v[193:194], v[54:55], s[14:15], v[193:194]
	v_add_f64 v[18:19], v[18:19], v[20:21]
	;; [unrolled: 2-line block ×4, first 2 shown]
	v_fma_f64 v[195:196], v[191:192], s[16:17], v[100:101]
	v_fma_f64 v[28:29], v[177:178], -0.5, v[28:29]
	v_fma_f64 v[177:178], v[191:192], s[16:17], v[42:43]
	v_fma_f64 v[191:192], v[18:19], s[16:17], v[193:194]
	;; [unrolled: 1-line block ×3, first 2 shown]
	v_add_f64 v[10:11], v[20:21], v[48:49]
	v_add_f64 v[18:19], v[4:5], v[0:1]
	v_fma_f64 v[20:21], v[26:27], s[16:17], v[22:23]
	v_fma_f64 v[22:23], v[185:186], s[10:11], v[62:63]
	v_add_f64 v[62:63], v[6:7], v[24:25]
	v_add_f64 v[197:198], v[2:3], v[6:7]
	v_add_f64 v[54:55], v[12:13], -v[8:9]
	v_add_f64 v[100:101], v[14:15], -v[48:49]
	;; [unrolled: 1-line block ×3, first 2 shown]
	v_fma_f64 v[18:19], v[18:19], -0.5, v[2:3]
	v_add_f64 v[12:13], v[12:13], -v[14:15]
	v_fma_f64 v[42:43], v[181:182], s[10:11], v[28:29]
	v_fma_f64 v[2:3], v[62:63], -0.5, v[2:3]
	v_fma_f64 v[28:29], v[181:182], s[4:5], v[28:29]
	v_add_f64 v[48:49], v[197:198], v[4:5]
	v_add_f64 v[16:17], v[16:17], v[239:240]
	v_fma_f64 v[22:23], v[181:182], s[14:15], v[22:23]
	v_add_f64 v[14:15], v[54:55], v[100:101]
	v_fma_f64 v[54:55], v[8:9], s[10:11], v[18:19]
	v_add_f64 v[62:63], v[6:7], -v[4:5]
	v_add_f64 v[100:101], v[24:25], -v[0:1]
	v_fma_f64 v[18:19], v[8:9], s[4:5], v[18:19]
	v_fma_f64 v[181:182], v[12:13], s[4:5], v[2:3]
	v_add_f64 v[4:5], v[4:5], -v[6:7]
	v_add_f64 v[6:7], v[0:1], -v[24:25]
	v_fma_f64 v[2:3], v[12:13], s[10:11], v[2:3]
	v_fma_f64 v[42:43], v[185:186], s[6:7], v[42:43]
	;; [unrolled: 1-line block ×3, first 2 shown]
	v_add_f64 v[0:1], v[48:49], v[0:1]
	v_add_f64 v[16:17], v[16:17], v[241:242]
	v_fma_f64 v[48:49], v[12:13], s[14:15], v[54:55]
	v_add_f64 v[54:55], v[62:63], v[100:101]
	v_fma_f64 v[12:13], v[12:13], s[6:7], v[18:19]
	v_fma_f64 v[18:19], v[8:9], s[14:15], v[181:182]
	v_add_f64 v[4:5], v[4:5], v[6:7]
	v_fma_f64 v[2:3], v[8:9], s[6:7], v[2:3]
	v_mov_b32_e32 v100, 3
	v_fma_f64 v[8:9], v[14:15], s[16:17], v[42:43]
	v_fma_f64 v[14:15], v[14:15], s[16:17], v[28:29]
	v_add_f64 v[62:63], v[0:1], v[24:25]
	v_mul_u32_u24_e32 v0, 0x78, v65
	v_lshlrev_b32_sdwa v1, v100, v66 dst_sel:DWORD dst_unused:UNUSED_PAD src0_sel:DWORD src1_sel:BYTE_0
	v_fma_f64 v[6:7], v[26:27], s[16:17], v[22:23]
	v_add3_u32 v65, 0, v0, v1
	v_mul_u32_u24_e32 v0, 0x78, v67
	v_lshlrev_b32_sdwa v1, v100, v68 dst_sel:DWORD dst_unused:UNUSED_PAD src0_sel:DWORD src1_sel:BYTE_0
	s_barrier
	ds_write2_b64 v65, v[16:17], v[56:57] offset1:3
	ds_write2_b64 v65, v[58:59], v[60:61] offset0:6 offset1:9
	ds_write_b64 v65, v[52:53] offset:96
	v_add3_u32 v56, 0, v0, v1
	v_mul_u32_u24_e32 v0, 0x78, v69
	v_lshlrev_b32_e32 v1, 3, v70
	v_add3_u32 v57, 0, v0, v1
	v_mul_u32_u24_e32 v0, 0x78, v71
	v_lshlrev_b32_e32 v1, 3, v72
	;; [unrolled: 3-line block ×4, first 2 shown]
	v_add3_u32 v60, 0, v0, v1
	v_fma_f64 v[48:49], v[54:55], s[16:17], v[48:49]
	v_fma_f64 v[181:182], v[54:55], s[16:17], v[12:13]
	;; [unrolled: 1-line block ×4, first 2 shown]
	ds_write2_b64 v56, v[81:82], v[83:84] offset1:3
	ds_write2_b64 v56, v[85:86], v[79:80] offset0:6 offset1:9
	ds_write_b64 v56, v[77:78] offset:96
	ds_write2_b64 v57, v[179:180], v[109:110] offset1:3
	ds_write2_b64 v57, v[155:156], v[34:35] offset0:6 offset1:9
	ds_write_b64 v57, v[149:150] offset:96
	;; [unrolled: 3-line block ×5, first 2 shown]
	s_waitcnt lgkmcnt(0)
	s_barrier
	ds_read_b64 v[30:31], v136
	ds_read2_b64 v[8:11], v91 offset0:95 offset1:220
	ds_read2_b64 v[4:7], v93 offset0:77 offset1:202
	;; [unrolled: 1-line block ×11, first 2 shown]
	ds_read_b64 v[22:23], v98
	ds_read_b64 v[20:21], v99
	;; [unrolled: 1-line block ×6, first 2 shown]
	ds_read_b64 v[34:35], v136 offset:29000
	s_waitcnt lgkmcnt(0)
	s_barrier
	ds_write2_b64 v65, v[38:39], v[46:47] offset1:3
	ds_write2_b64 v65, v[50:51], v[36:37] offset0:6 offset1:9
	ds_write_b64 v65, v[40:41] offset:96
	ds_write2_b64 v56, v[153:154], v[113:114] offset1:3
	ds_write2_b64 v56, v[147:148], v[103:104] offset0:6 offset1:9
	ds_write_b64 v56, v[143:144] offset:96
	;; [unrolled: 3-line block ×6, first 2 shown]
	v_mul_lo_u16_sdwa v36, v122, s0 dst_sel:DWORD dst_unused:UNUSED_PAD src0_sel:BYTE_0 src1_sel:DWORD
	v_lshrrev_b16_e32 v56, 11, v36
	v_mul_lo_u16_e32 v36, 15, v56
	v_sub_u16_e32 v57, v122, v36
	v_lshlrev_b32_sdwa v40, v64, v57 dst_sel:DWORD dst_unused:UNUSED_PAD src0_sel:DWORD src1_sel:BYTE_0
	s_waitcnt lgkmcnt(0)
	s_barrier
	global_load_dwordx4 v[36:39], v40, s[8:9] offset:192
	global_load_dwordx4 v[46:49], v40, s[8:9] offset:208
	;; [unrolled: 1-line block ×4, first 2 shown]
	v_mul_lo_u16_sdwa v40, v123, s0 dst_sel:DWORD dst_unused:UNUSED_PAD src0_sel:BYTE_0 src1_sel:DWORD
	v_lshrrev_b16_e32 v58, 11, v40
	v_mul_lo_u16_e32 v40, 15, v58
	v_sub_u16_e32 v59, v123, v40
	v_lshlrev_b32_sdwa v40, v64, v59 dst_sel:DWORD dst_unused:UNUSED_PAD src0_sel:DWORD src1_sel:BYTE_0
	global_load_dwordx4 v[62:65], v40, s[8:9] offset:192
	global_load_dwordx4 v[145:148], v40, s[8:9] offset:208
	;; [unrolled: 1-line block ×3, first 2 shown]
	s_mov_b32 s0, 0x8889
	v_mul_u32_u24_sdwa v41, v124, s0 dst_sel:DWORD dst_unused:UNUSED_PAD src0_sel:WORD_0 src1_sel:DWORD
	v_lshrrev_b32_e32 v60, 19, v41
	v_mul_lo_u16_e32 v41, 15, v60
	v_sub_u16_e32 v61, v124, v41
	v_lshlrev_b32_e32 v41, 6, v61
	global_load_dwordx4 v[153:156], v41, s[8:9] offset:192
	global_load_dwordx4 v[157:160], v40, s[8:9] offset:240
	;; [unrolled: 1-line block ×5, first 2 shown]
	v_mul_u32_u24_sdwa v40, v125, s0 dst_sel:DWORD dst_unused:UNUSED_PAD src0_sel:WORD_0 src1_sel:DWORD
	v_lshrrev_b32_e32 v68, 19, v40
	v_mul_lo_u16_e32 v40, 15, v68
	v_sub_u16_e32 v69, v125, v40
	v_lshlrev_b32_e32 v50, 6, v69
	ds_read_b64 v[86:87], v136
	ds_read2_b64 v[173:176], v91 offset0:95 offset1:220
	global_load_dwordx4 v[177:180], v50, s[8:9] offset:208
	global_load_dwordx4 v[181:184], v50, s[8:9] offset:192
	ds_read2_b64 v[185:188], v93 offset0:77 offset1:202
	ds_read2_b64 v[189:192], v94 offset0:59 offset1:184
	ds_read_b64 v[103:104], v97
	ds_read_b64 v[66:67], v96
	ds_read2_b64 v[193:196], v130 offset0:107 offset1:232
	ds_read2_b64 v[197:200], v131 offset0:89 offset1:214
	;; [unrolled: 1-line block ×3, first 2 shown]
	ds_read_b64 v[233:234], v136 offset:29000
	global_load_dwordx4 v[205:208], v50, s[8:9] offset:240
	global_load_dwordx4 v[209:212], v50, s[8:9] offset:224
	v_mul_u32_u24_sdwa v50, v126, s0 dst_sel:DWORD dst_unused:UNUSED_PAD src0_sel:WORD_0 src1_sel:DWORD
	v_lshrrev_b32_e32 v70, 19, v50
	v_mul_lo_u16_e32 v50, 15, v70
	v_sub_u16_e32 v71, v126, v50
	v_lshlrev_b32_e32 v50, 6, v71
	global_load_dwordx4 v[213:216], v50, s[8:9] offset:208
	global_load_dwordx4 v[217:220], v50, s[8:9] offset:192
	v_mul_u32_u24_sdwa v72, v128, s0 dst_sel:DWORD dst_unused:UNUSED_PAD src0_sel:WORD_0 src1_sel:DWORD
	v_lshrrev_b32_e32 v72, 19, v72
	v_mul_lo_u16_e32 v73, 15, v72
	v_sub_u16_e32 v73, v128, v73
	v_lshlrev_b32_e32 v101, 6, v73
	ds_read2_b64 v[221:224], v133 offset0:53 offset1:178
	s_movk_i32 s0, 0x4b
	v_cmp_gt_u32_e64 s[0:1], s0, v122
	s_waitcnt vmcnt(17) lgkmcnt(5)
	v_mul_f64 v[40:41], v[66:67], v[38:39]
	s_waitcnt vmcnt(16)
	v_mul_f64 v[237:238], v[175:176], v[48:49]
	v_mul_f64 v[239:240], v[10:11], v[48:49]
	s_waitcnt vmcnt(15)
	v_mul_f64 v[241:242], v[187:188], v[113:114]
	;; [unrolled: 3-line block ×3, first 2 shown]
	v_mul_f64 v[143:144], v[2:3], v[143:144]
	v_fma_f64 v[235:236], v[32:33], v[36:37], -v[40:41]
	v_mul_f64 v[32:33], v[32:33], v[38:39]
	global_load_dwordx4 v[38:41], v50, s[8:9] offset:240
	s_nop 0
	global_load_dwordx4 v[48:51], v50, s[8:9] offset:224
	s_nop 0
	global_load_dwordx4 v[225:228], v101, s[8:9] offset:208
	global_load_dwordx4 v[229:232], v101, s[8:9] offset:192
	v_fma_f64 v[175:176], v[175:176], v[46:47], v[239:240]
	v_fma_f64 v[187:188], v[187:188], v[111:112], v[113:114]
	v_fma_f64 v[239:240], v[2:3], v[141:142], -v[243:244]
	s_waitcnt vmcnt(17)
	v_mul_f64 v[2:3], v[26:27], v[64:65]
	v_fma_f64 v[191:192], v[191:192], v[141:142], v[143:144]
	v_fma_f64 v[245:246], v[66:67], v[36:37], v[32:33]
	v_fma_f64 v[36:37], v[10:11], v[46:47], -v[237:238]
	v_fma_f64 v[237:238], v[6:7], v[111:112], -v[241:242]
	s_waitcnt lgkmcnt(4)
	v_mul_f64 v[6:7], v[193:194], v[64:65]
	global_load_dwordx4 v[64:67], v101, s[8:9] offset:240
	global_load_dwordx4 v[111:114], v101, s[8:9] offset:224
	s_waitcnt vmcnt(18) lgkmcnt(3)
	v_mul_f64 v[10:11], v[197:198], v[147:148]
	v_mul_f64 v[32:33], v[42:43], v[147:148]
	v_fma_f64 v[193:194], v[193:194], v[62:63], v[2:3]
	s_waitcnt vmcnt(16)
	v_mul_f64 v[2:3], v[195:196], v[155:156]
	s_waitcnt vmcnt(13)
	v_mul_f64 v[46:47], v[54:55], v[167:168]
	ds_read2_b64 v[141:144], v88 offset0:101 offset1:226
	v_fma_f64 v[241:242], v[26:27], v[62:63], -v[6:7]
	s_waitcnt lgkmcnt(3)
	v_mul_f64 v[6:7], v[201:202], v[151:152]
	v_fma_f64 v[243:244], v[42:43], v[145:146], -v[10:11]
	v_mul_f64 v[10:11], v[28:29], v[155:156]
	v_mul_f64 v[26:27], v[52:53], v[151:152]
	v_fma_f64 v[197:198], v[197:198], v[145:146], v[32:33]
	v_mul_f64 v[32:33], v[74:75], v[159:160]
	v_mul_f64 v[42:43], v[203:204], v[167:168]
	ds_read2_b64 v[145:148], v89 offset0:65 offset1:190
	v_fma_f64 v[155:156], v[52:53], v[149:150], -v[6:7]
	s_waitcnt lgkmcnt(2)
	v_mul_f64 v[6:7], v[221:222], v[159:160]
	v_fma_f64 v[159:160], v[28:29], v[153:154], -v[2:3]
	v_mul_f64 v[2:3], v[199:200], v[163:164]
	v_fma_f64 v[201:202], v[201:202], v[149:150], v[26:27]
	ds_read2_b64 v[26:29], v90 offset0:83 offset1:208
	v_fma_f64 v[153:154], v[195:196], v[153:154], v[10:11]
	v_mul_f64 v[10:11], v[44:45], v[163:164]
	v_fma_f64 v[167:168], v[54:55], v[165:166], -v[42:43]
	v_fma_f64 v[74:75], v[74:75], v[157:158], -v[6:7]
	s_waitcnt vmcnt(12)
	v_mul_f64 v[6:7], v[223:224], v[171:172]
	v_fma_f64 v[157:158], v[221:222], v[157:158], v[32:33]
	v_fma_f64 v[163:164], v[44:45], v[161:162], -v[2:3]
	v_fma_f64 v[165:166], v[203:204], v[165:166], v[46:47]
	v_mul_f64 v[32:33], v[76:77], v[171:172]
	s_waitcnt vmcnt(10) lgkmcnt(2)
	v_mul_f64 v[42:43], v[141:142], v[183:184]
	v_mul_f64 v[44:45], v[78:79], v[183:184]
	s_waitcnt lgkmcnt(0)
	v_mul_f64 v[46:47], v[26:27], v[179:180]
	v_mul_f64 v[52:53], v[82:83], v[179:180]
	v_fma_f64 v[76:77], v[76:77], v[169:170], -v[6:7]
	s_waitcnt vmcnt(8)
	v_mul_f64 v[6:7], v[145:146], v[211:212]
	ds_read2_b64 v[149:152], v92 offset0:47 offset1:172
	v_fma_f64 v[169:170], v[223:224], v[169:170], v[32:33]
	v_fma_f64 v[78:79], v[78:79], v[181:182], -v[42:43]
	v_fma_f64 v[141:142], v[141:142], v[181:182], v[44:45]
	v_fma_f64 v[82:83], v[82:83], v[177:178], -v[46:47]
	v_fma_f64 v[177:178], v[26:27], v[177:178], v[52:53]
	v_mul_f64 v[26:27], v[107:108], v[211:212]
	s_waitcnt lgkmcnt(0)
	v_mul_f64 v[32:33], v[149:150], v[207:208]
	v_mul_f64 v[42:43], v[12:13], v[207:208]
	s_waitcnt vmcnt(6)
	v_mul_f64 v[44:45], v[143:144], v[219:220]
	v_mul_f64 v[54:55], v[28:29], v[215:216]
	v_fma_f64 v[107:108], v[107:108], v[209:210], -v[6:7]
	v_mul_f64 v[6:7], v[84:85], v[215:216]
	v_mul_f64 v[52:53], v[80:81], v[219:220]
	v_add_f64 v[62:63], v[36:37], v[237:238]
	v_fma_f64 v[181:182], v[12:13], v[205:206], -v[32:33]
	v_fma_f64 v[149:150], v[149:150], v[205:206], v[42:43]
	v_fma_f64 v[46:47], v[80:81], v[217:218], -v[44:45]
	v_fma_f64 v[44:45], v[84:85], v[213:214], -v[54:55]
	v_fma_f64 v[145:146], v[145:146], v[209:210], v[26:27]
	v_fma_f64 v[28:29], v[28:29], v[213:214], v[6:7]
	;; [unrolled: 1-line block ×3, first 2 shown]
	v_add_f64 v[143:144], v[86:87], v[245:246]
	v_add_f64 v[183:184], v[197:198], -v[201:202]
	v_fma_f64 v[161:162], v[199:200], v[161:162], v[10:11]
	ds_read_b64 v[171:172], v98
	ds_read_b64 v[179:180], v99
	;; [unrolled: 1-line block ×4, first 2 shown]
	v_add_f64 v[195:196], v[167:168], -v[76:77]
	s_waitcnt vmcnt(0) lgkmcnt(0)
	s_barrier
	v_add_f64 v[143:144], v[143:144], v[175:176]
	v_mul_f64 v[32:33], v[151:152], v[40:41]
	v_mul_f64 v[12:13], v[147:148], v[50:51]
	v_mul_f64 v[6:7], v[109:110], v[50:51]
	v_mul_f64 v[40:41], v[14:15], v[40:41]
	v_mul_f64 v[42:43], v[173:174], v[231:232]
	v_mul_f64 v[50:51], v[8:9], v[231:232]
	v_mul_f64 v[54:55], v[185:186], v[227:228]
	v_add_u32_e32 v199, 0x4c00, v136
	v_fma_f64 v[84:85], v[14:15], v[38:39], -v[32:33]
	v_fma_f64 v[80:81], v[109:110], v[48:49], -v[12:13]
	v_fma_f64 v[48:49], v[147:148], v[48:49], v[6:7]
	v_fma_f64 v[52:53], v[151:152], v[38:39], v[40:41]
	v_fma_f64 v[12:13], v[8:9], v[229:230], -v[42:43]
	v_fma_f64 v[6:7], v[173:174], v[229:230], v[50:51]
	v_fma_f64 v[8:9], v[4:5], v[225:226], -v[54:55]
	v_add_f64 v[14:15], v[30:31], v[235:236]
	v_fma_f64 v[38:39], v[62:63], -0.5, v[30:31]
	v_add_f64 v[40:41], v[245:246], -v[191:192]
	v_mul_f64 v[32:33], v[189:190], v[113:114]
	v_mul_f64 v[50:51], v[233:234], v[66:67]
	v_mul_f64 v[54:55], v[34:35], v[66:67]
	v_add_f64 v[62:63], v[235:236], v[239:240]
	v_mul_f64 v[4:5], v[4:5], v[227:228]
	v_mul_f64 v[42:43], v[0:1], v[113:114]
	v_add_f64 v[66:67], v[14:15], v[36:37]
	v_fma_f64 v[109:110], v[40:41], s[4:5], v[38:39]
	v_add_f64 v[113:114], v[175:176], -v[187:188]
	v_fma_f64 v[32:33], v[0:1], v[111:112], -v[32:33]
	v_fma_f64 v[34:35], v[34:35], v[64:65], -v[50:51]
	v_fma_f64 v[30:31], v[62:63], -0.5, v[30:31]
	v_fma_f64 v[0:1], v[233:234], v[64:65], v[54:55]
	v_add_f64 v[54:55], v[235:236], -v[36:37]
	v_add_f64 v[64:65], v[239:240], -v[237:238]
	v_fma_f64 v[38:39], v[40:41], s[10:11], v[38:39]
	v_fma_f64 v[14:15], v[185:186], v[225:226], v[4:5]
	;; [unrolled: 1-line block ×3, first 2 shown]
	v_add_f64 v[42:43], v[66:67], v[237:238]
	v_fma_f64 v[50:51], v[113:114], s[6:7], v[109:110]
	v_add_f64 v[62:63], v[175:176], v[187:188]
	v_fma_f64 v[66:67], v[113:114], s[10:11], v[30:31]
	v_add_f64 v[109:110], v[36:37], -v[235:236]
	v_add_f64 v[111:112], v[237:238], -v[239:240]
	v_fma_f64 v[30:31], v[113:114], s[4:5], v[30:31]
	v_add_f64 v[54:55], v[54:55], v[64:65]
	v_fma_f64 v[64:65], v[113:114], s[14:15], v[38:39]
	v_add_f64 v[113:114], v[245:246], v[191:192]
	v_fma_f64 v[62:63], v[62:63], -0.5, v[86:87]
	v_add_f64 v[147:148], v[235:236], -v[239:240]
	v_add_f64 v[173:174], v[36:37], -v[237:238]
	v_add_f64 v[109:110], v[109:110], v[111:112]
	v_fma_f64 v[111:112], v[40:41], s[14:15], v[30:31]
	v_fma_f64 v[38:39], v[54:55], s[16:17], v[50:51]
	;; [unrolled: 1-line block ×3, first 2 shown]
	v_fma_f64 v[50:51], v[113:114], -0.5, v[86:87]
	v_add_f64 v[30:31], v[42:43], v[239:240]
	v_fma_f64 v[151:152], v[147:148], s[10:11], v[62:63]
	v_fma_f64 v[36:37], v[54:55], s[16:17], v[64:65]
	v_add_f64 v[54:55], v[143:144], v[187:188]
	v_fma_f64 v[42:43], v[109:110], s[16:17], v[111:112]
	v_add_f64 v[86:87], v[243:244], v[155:156]
	v_add_f64 v[113:114], v[175:176], -v[245:246]
	v_fma_f64 v[111:112], v[173:174], s[4:5], v[50:51]
	v_add_f64 v[143:144], v[187:188], -v[191:192]
	v_fma_f64 v[50:51], v[173:174], s[10:11], v[50:51]
	v_fma_f64 v[40:41], v[109:110], s[16:17], v[66:67]
	;; [unrolled: 1-line block ×3, first 2 shown]
	v_add_f64 v[66:67], v[245:246], -v[175:176]
	v_add_f64 v[109:110], v[191:192], -v[187:188]
	v_fma_f64 v[62:63], v[147:148], s[4:5], v[62:63]
	v_add_f64 v[151:152], v[24:25], v[241:242]
	v_fma_f64 v[86:87], v[86:87], -0.5, v[24:25]
	v_add_f64 v[175:176], v[193:194], -v[157:158]
	v_fma_f64 v[111:112], v[147:148], s[14:15], v[111:112]
	v_add_f64 v[113:114], v[113:114], v[143:144]
	v_fma_f64 v[143:144], v[147:148], s[6:7], v[50:51]
	v_add_f64 v[147:148], v[241:242], v[74:75]
	v_add_f64 v[66:67], v[66:67], v[109:110]
	v_fma_f64 v[109:110], v[173:174], s[6:7], v[62:63]
	v_add_f64 v[151:152], v[151:152], v[243:244]
	v_fma_f64 v[173:174], v[175:176], s[4:5], v[86:87]
	v_add_f64 v[50:51], v[54:55], v[191:192]
	v_add_f64 v[185:186], v[155:156], -v[74:75]
	v_fma_f64 v[86:87], v[175:176], s[10:11], v[86:87]
	v_fma_f64 v[24:25], v[147:148], -0.5, v[24:25]
	v_fma_f64 v[62:63], v[66:67], s[16:17], v[64:65]
	v_fma_f64 v[54:55], v[66:67], s[16:17], v[109:110]
	;; [unrolled: 1-line block ×4, first 2 shown]
	v_add_f64 v[109:110], v[151:152], v[155:156]
	v_fma_f64 v[111:112], v[183:184], s[6:7], v[173:174]
	v_add_f64 v[113:114], v[241:242], -v[243:244]
	v_add_f64 v[143:144], v[197:198], v[201:202]
	v_add_f64 v[147:148], v[74:75], -v[155:156]
	v_fma_f64 v[151:152], v[183:184], s[10:11], v[24:25]
	v_add_f64 v[173:174], v[243:244], -v[241:242]
	v_add_f64 v[189:190], v[241:242], -v[74:75]
	v_fma_f64 v[24:25], v[183:184], s[4:5], v[24:25]
	v_add_f64 v[187:188], v[103:104], v[193:194]
	v_fma_f64 v[86:87], v[183:184], s[14:15], v[86:87]
	v_fma_f64 v[143:144], v[143:144], -0.5, v[103:104]
	v_add_f64 v[113:114], v[113:114], v[147:148]
	v_fma_f64 v[147:148], v[175:176], s[6:7], v[151:152]
	v_add_f64 v[151:152], v[173:174], v[185:186]
	v_add_f64 v[173:174], v[193:194], v[157:158]
	v_add_f64 v[155:156], v[243:244], -v[155:156]
	v_fma_f64 v[24:25], v[175:176], s[14:15], v[24:25]
	v_add_f64 v[175:176], v[187:188], v[197:198]
	v_fma_f64 v[183:184], v[189:190], s[10:11], v[143:144]
	v_add_f64 v[74:75], v[109:110], v[74:75]
	v_fma_f64 v[109:110], v[113:114], s[16:17], v[111:112]
	v_fma_f64 v[111:112], v[151:152], s[16:17], v[147:148]
	v_fma_f64 v[103:104], v[173:174], -0.5, v[103:104]
	v_add_f64 v[173:174], v[163:164], v[167:168]
	v_fma_f64 v[143:144], v[189:190], s[4:5], v[143:144]
	v_fma_f64 v[86:87], v[113:114], s[16:17], v[86:87]
	;; [unrolled: 1-line block ×4, first 2 shown]
	v_add_f64 v[113:114], v[175:176], v[201:202]
	v_add_f64 v[151:152], v[193:194], -v[197:198]
	v_fma_f64 v[183:184], v[155:156], s[4:5], v[103:104]
	v_add_f64 v[175:176], v[157:158], -v[201:202]
	v_add_f64 v[185:186], v[197:198], -v[193:194]
	;; [unrolled: 1-line block ×3, first 2 shown]
	v_fma_f64 v[103:104], v[155:156], s[10:11], v[103:104]
	v_add_f64 v[191:192], v[22:23], v[159:160]
	v_fma_f64 v[173:174], v[173:174], -0.5, v[22:23]
	v_add_f64 v[193:194], v[153:154], -v[169:170]
	v_fma_f64 v[143:144], v[155:156], s[6:7], v[143:144]
	v_fma_f64 v[155:156], v[189:190], s[14:15], v[183:184]
	v_add_f64 v[183:184], v[159:160], v[76:77]
	v_add_f64 v[151:152], v[151:152], v[175:176]
	v_add_f64 v[175:176], v[185:186], v[187:188]
	v_fma_f64 v[103:104], v[189:190], s[6:7], v[103:104]
	v_add_f64 v[185:186], v[191:192], v[163:164]
	v_fma_f64 v[187:188], v[193:194], s[4:5], v[173:174]
	v_add_f64 v[189:190], v[161:162], -v[165:166]
	v_fma_f64 v[173:174], v[193:194], s[10:11], v[173:174]
	v_fma_f64 v[22:23], v[183:184], -0.5, v[22:23]
	v_add_f64 v[113:114], v[113:114], v[157:158]
	v_fma_f64 v[147:148], v[151:152], s[16:17], v[147:148]
	v_fma_f64 v[143:144], v[151:152], s[16:17], v[143:144]
	;; [unrolled: 1-line block ×4, first 2 shown]
	v_add_f64 v[155:156], v[185:186], v[167:168]
	v_fma_f64 v[157:158], v[189:190], s[6:7], v[187:188]
	v_add_f64 v[175:176], v[159:160], -v[163:164]
	v_add_f64 v[183:184], v[161:162], v[165:166]
	v_add_f64 v[185:186], v[76:77], -v[167:168]
	v_fma_f64 v[187:188], v[189:190], s[10:11], v[22:23]
	v_add_f64 v[191:192], v[163:164], -v[159:160]
	v_fma_f64 v[22:23], v[189:190], s[4:5], v[22:23]
	v_add_f64 v[197:198], v[171:172], v[153:154]
	v_fma_f64 v[173:174], v[189:190], s[14:15], v[173:174]
	v_add_f64 v[189:190], v[153:154], v[169:170]
	v_fma_f64 v[183:184], v[183:184], -0.5, v[171:172]
	v_add_f64 v[159:160], v[159:160], -v[76:77]
	v_add_f64 v[175:176], v[175:176], v[185:186]
	v_fma_f64 v[185:186], v[193:194], s[6:7], v[187:188]
	v_add_f64 v[187:188], v[191:192], v[195:196]
	v_fma_f64 v[22:23], v[193:194], s[14:15], v[22:23]
	v_add_f64 v[191:192], v[197:198], v[161:162]
	v_add_f64 v[163:164], v[163:164], -v[167:168]
	v_fma_f64 v[171:172], v[189:190], -0.5, v[171:172]
	v_fma_f64 v[193:194], v[159:160], s[10:11], v[183:184]
	v_add_f64 v[76:77], v[155:156], v[76:77]
	v_fma_f64 v[155:156], v[175:176], s[16:17], v[157:158]
	v_fma_f64 v[157:158], v[175:176], s[16:17], v[173:174]
	;; [unrolled: 1-line block ×4, first 2 shown]
	v_add_f64 v[173:174], v[191:192], v[165:166]
	v_add_f64 v[185:186], v[153:154], -v[161:162]
	v_add_f64 v[187:188], v[82:83], v[107:108]
	v_add_f64 v[189:190], v[169:170], -v[165:166]
	v_fma_f64 v[183:184], v[159:160], s[4:5], v[183:184]
	v_fma_f64 v[191:192], v[163:164], s[4:5], v[171:172]
	v_add_f64 v[153:154], v[161:162], -v[153:154]
	v_add_f64 v[161:162], v[165:166], -v[169:170]
	v_fma_f64 v[165:166], v[163:164], s[10:11], v[171:172]
	v_fma_f64 v[175:176], v[163:164], s[14:15], v[193:194]
	v_add_f64 v[171:172], v[20:21], v[78:79]
	v_fma_f64 v[187:188], v[187:188], -0.5, v[20:21]
	v_add_f64 v[193:194], v[141:142], -v[149:150]
	v_fma_f64 v[163:164], v[163:164], s[6:7], v[183:184]
	v_fma_f64 v[183:184], v[159:160], s[14:15], v[191:192]
	v_add_f64 v[185:186], v[185:186], v[189:190]
	v_fma_f64 v[159:160], v[159:160], s[6:7], v[165:166]
	v_add_f64 v[165:166], v[78:79], v[181:182]
	v_add_f64 v[153:154], v[153:154], v[161:162]
	;; [unrolled: 1-line block ×3, first 2 shown]
	v_fma_f64 v[171:172], v[193:194], s[4:5], v[187:188]
	v_add_f64 v[189:190], v[177:178], -v[145:146]
	v_add_f64 v[169:170], v[173:174], v[169:170]
	v_fma_f64 v[173:174], v[185:186], s[16:17], v[175:176]
	v_fma_f64 v[163:164], v[185:186], s[16:17], v[163:164]
	v_fma_f64 v[20:21], v[165:166], -0.5, v[20:21]
	v_fma_f64 v[175:176], v[153:154], s[16:17], v[183:184]
	v_fma_f64 v[153:154], v[153:154], s[16:17], v[159:160]
	v_add_f64 v[159:160], v[161:162], v[107:108]
	v_fma_f64 v[161:162], v[189:190], s[6:7], v[171:172]
	v_add_f64 v[165:166], v[78:79], -v[82:83]
	v_add_f64 v[171:172], v[179:180], v[141:142]
	v_add_f64 v[183:184], v[177:178], v[145:146]
	v_add_f64 v[185:186], v[181:182], -v[107:108]
	v_fma_f64 v[187:188], v[193:194], s[10:11], v[187:188]
	v_fma_f64 v[191:192], v[189:190], s[10:11], v[20:21]
	v_add_f64 v[195:196], v[82:83], -v[78:79]
	v_add_f64 v[197:198], v[107:108], -v[181:182]
	v_fma_f64 v[20:21], v[189:190], s[4:5], v[20:21]
	v_add_f64 v[171:172], v[171:172], v[177:178]
	v_fma_f64 v[183:184], v[183:184], -0.5, v[179:180]
	v_add_f64 v[78:79], v[78:79], -v[181:182]
	v_add_f64 v[165:166], v[165:166], v[185:186]
	v_fma_f64 v[185:186], v[189:190], s[14:15], v[187:188]
	v_fma_f64 v[187:188], v[193:194], s[6:7], v[191:192]
	v_add_f64 v[189:190], v[195:196], v[197:198]
	v_fma_f64 v[20:21], v[193:194], s[14:15], v[20:21]
	v_add_f64 v[191:192], v[141:142], v[149:150]
	v_add_f64 v[171:172], v[171:172], v[145:146]
	v_fma_f64 v[193:194], v[78:79], s[10:11], v[183:184]
	v_add_f64 v[82:83], v[82:83], -v[107:108]
	v_add_f64 v[107:108], v[159:160], v[181:182]
	v_fma_f64 v[159:160], v[165:166], s[16:17], v[161:162]
	v_fma_f64 v[161:162], v[165:166], s[16:17], v[185:186]
	;; [unrolled: 1-line block ×4, first 2 shown]
	v_fma_f64 v[179:180], v[191:192], -0.5, v[179:180]
	v_add_f64 v[189:190], v[18:19], v[46:47]
	v_add_f64 v[185:186], v[141:142], -v[177:178]
	v_add_f64 v[187:188], v[149:150], -v[145:146]
	;; [unrolled: 1-line block ×4, first 2 shown]
	v_add_f64 v[171:172], v[171:172], v[149:150]
	v_fma_f64 v[181:182], v[82:83], s[14:15], v[193:194]
	v_fma_f64 v[183:184], v[78:79], s[4:5], v[183:184]
	v_add_f64 v[191:192], v[44:45], v[80:81]
	v_fma_f64 v[193:194], v[82:83], s[4:5], v[179:180]
	v_fma_f64 v[149:150], v[82:83], s[10:11], v[179:180]
	v_add_f64 v[179:180], v[189:190], v[44:45]
	v_add_f64 v[177:178], v[185:186], v[187:188]
	;; [unrolled: 1-line block ×4, first 2 shown]
	v_fma_f64 v[82:83], v[82:83], s[6:7], v[183:184]
	v_fma_f64 v[183:184], v[191:192], -0.5, v[18:19]
	v_add_f64 v[185:186], v[26:27], -v[52:53]
	v_fma_f64 v[187:188], v[78:79], s[14:15], v[193:194]
	v_fma_f64 v[78:79], v[78:79], s[6:7], v[149:150]
	v_add_f64 v[149:150], v[179:180], v[80:81]
	v_fma_f64 v[179:180], v[177:178], s[16:17], v[181:182]
	v_add_f64 v[181:182], v[28:29], -v[48:49]
	v_fma_f64 v[18:19], v[145:146], -0.5, v[18:19]
	v_fma_f64 v[82:83], v[177:178], s[16:17], v[82:83]
	v_fma_f64 v[177:178], v[185:186], s[4:5], v[183:184]
	;; [unrolled: 1-line block ×4, first 2 shown]
	v_add_f64 v[141:142], v[149:150], v[84:85]
	v_add_f64 v[145:146], v[46:47], -v[44:45]
	v_add_f64 v[149:150], v[84:85], -v[80:81]
	v_fma_f64 v[183:184], v[185:186], s[10:11], v[183:184]
	v_add_f64 v[189:190], v[10:11], v[26:27]
	v_add_f64 v[191:192], v[28:29], v[48:49]
	v_fma_f64 v[193:194], v[181:182], s[10:11], v[18:19]
	v_add_f64 v[195:196], v[44:45], -v[46:47]
	v_add_f64 v[197:198], v[80:81], -v[84:85]
	v_fma_f64 v[177:178], v[181:182], s[6:7], v[177:178]
	v_add_f64 v[145:146], v[145:146], v[149:150]
	v_fma_f64 v[149:150], v[181:182], s[14:15], v[183:184]
	v_fma_f64 v[18:19], v[181:182], s[4:5], v[18:19]
	v_add_f64 v[181:182], v[189:190], v[28:29]
	v_fma_f64 v[183:184], v[191:192], -0.5, v[10:11]
	v_add_f64 v[46:47], v[46:47], -v[84:85]
	v_fma_f64 v[84:85], v[185:186], s[6:7], v[193:194]
	v_add_f64 v[189:190], v[195:196], v[197:198]
	v_fma_f64 v[177:178], v[145:146], s[16:17], v[177:178]
	v_fma_f64 v[145:146], v[145:146], s[16:17], v[149:150]
	;; [unrolled: 1-line block ×3, first 2 shown]
	v_add_f64 v[149:150], v[181:182], v[48:49]
	v_add_f64 v[181:182], v[26:27], v[52:53]
	v_fma_f64 v[185:186], v[46:47], s[10:11], v[183:184]
	v_add_f64 v[44:45], v[44:45], -v[80:81]
	v_fma_f64 v[80:81], v[189:190], s[16:17], v[84:85]
	v_add_f64 v[84:85], v[8:9], v[32:33]
	v_add_f64 v[191:192], v[26:27], -v[28:29]
	v_add_f64 v[193:194], v[52:53], -v[48:49]
	v_fma_f64 v[18:19], v[189:190], s[16:17], v[18:19]
	v_fma_f64 v[10:11], v[181:182], -0.5, v[10:11]
	v_add_f64 v[189:190], v[6:7], -v[0:1]
	v_fma_f64 v[181:182], v[44:45], s[14:15], v[185:186]
	v_add_f64 v[185:186], v[16:17], v[12:13]
	v_fma_f64 v[84:85], v[84:85], -0.5, v[16:17]
	v_fma_f64 v[183:184], v[46:47], s[4:5], v[183:184]
	v_add_f64 v[191:192], v[191:192], v[193:194]
	v_add_f64 v[26:27], v[28:29], -v[26:27]
	v_fma_f64 v[193:194], v[44:45], s[4:5], v[10:11]
	v_add_f64 v[28:29], v[48:49], -v[52:53]
	v_fma_f64 v[10:11], v[44:45], s[10:11], v[10:11]
	v_add_f64 v[149:150], v[149:150], v[52:53]
	v_add_f64 v[48:49], v[185:186], v[8:9]
	v_fma_f64 v[52:53], v[189:190], s[4:5], v[84:85]
	v_add_f64 v[185:186], v[14:15], -v[4:5]
	v_add_f64 v[195:196], v[12:13], -v[8:9]
	;; [unrolled: 1-line block ×3, first 2 shown]
	v_fma_f64 v[44:45], v[44:45], s[6:7], v[183:184]
	v_add_f64 v[183:184], v[12:13], v[34:35]
	v_fma_f64 v[193:194], v[46:47], s[14:15], v[193:194]
	v_add_f64 v[26:27], v[26:27], v[28:29]
	;; [unrolled: 2-line block ×4, first 2 shown]
	v_fma_f64 v[181:182], v[191:192], s[16:17], v[181:182]
	v_fma_f64 v[16:17], v[183:184], -0.5, v[16:17]
	v_fma_f64 v[183:184], v[191:192], s[16:17], v[44:45]
	v_fma_f64 v[191:192], v[26:27], s[16:17], v[193:194]
	;; [unrolled: 1-line block ×3, first 2 shown]
	v_add_f64 v[26:27], v[14:15], v[4:5]
	v_fma_f64 v[44:45], v[189:190], s[10:11], v[84:85]
	v_add_f64 v[84:85], v[6:7], v[0:1]
	v_add_f64 v[10:11], v[28:29], v[34:35]
	v_fma_f64 v[28:29], v[48:49], s[16:17], v[46:47]
	v_fma_f64 v[46:47], v[185:186], s[10:11], v[16:17]
	v_add_f64 v[197:198], v[2:3], v[6:7]
	v_add_f64 v[52:53], v[8:9], -v[12:13]
	v_add_f64 v[195:196], v[32:33], -v[34:35]
	v_fma_f64 v[26:27], v[26:27], -0.5, v[2:3]
	v_add_f64 v[12:13], v[12:13], -v[34:35]
	v_add_f64 v[8:9], v[8:9], -v[32:33]
	v_fma_f64 v[2:3], v[84:85], -0.5, v[2:3]
	v_fma_f64 v[34:35], v[185:186], s[14:15], v[44:45]
	v_fma_f64 v[44:45], v[189:190], s[6:7], v[46:47]
	;; [unrolled: 1-line block ×3, first 2 shown]
	v_add_f64 v[46:47], v[197:198], v[14:15]
	v_add_f64 v[32:33], v[52:53], v[195:196]
	v_fma_f64 v[52:53], v[12:13], s[10:11], v[26:27]
	v_add_f64 v[84:85], v[6:7], -v[14:15]
	v_add_f64 v[185:186], v[0:1], -v[4:5]
	v_fma_f64 v[26:27], v[12:13], s[4:5], v[26:27]
	v_fma_f64 v[195:196], v[8:9], s[4:5], v[2:3]
	v_add_f64 v[6:7], v[14:15], -v[6:7]
	v_add_f64 v[14:15], v[4:5], -v[0:1]
	v_fma_f64 v[2:3], v[8:9], s[10:11], v[2:3]
	v_fma_f64 v[16:17], v[189:190], s[14:15], v[16:17]
	v_add_f64 v[4:5], v[46:47], v[4:5]
	v_fma_f64 v[46:47], v[8:9], s[14:15], v[52:53]
	v_add_f64 v[52:53], v[84:85], v[185:186]
	v_fma_f64 v[8:9], v[8:9], s[6:7], v[26:27]
	v_fma_f64 v[26:27], v[12:13], s[14:15], v[195:196]
	v_add_f64 v[6:7], v[6:7], v[14:15]
	v_fma_f64 v[2:3], v[12:13], s[6:7], v[2:3]
	v_fma_f64 v[14:15], v[32:33], s[16:17], v[44:45]
	;; [unrolled: 1-line block ×3, first 2 shown]
	v_add_f64 v[84:85], v[4:5], v[0:1]
	v_mul_u32_u24_e32 v0, 0x258, v56
	v_lshlrev_b32_sdwa v1, v100, v57 dst_sel:DWORD dst_unused:UNUSED_PAD src0_sel:DWORD src1_sel:BYTE_0
	v_fma_f64 v[12:13], v[48:49], s[16:17], v[34:35]
	v_add3_u32 v101, 0, v0, v1
	v_mul_u32_u24_e32 v0, 0x258, v58
	v_lshlrev_b32_sdwa v1, v100, v59 dst_sel:DWORD dst_unused:UNUSED_PAD src0_sel:DWORD src1_sel:BYTE_0
	v_add3_u32 v105, 0, v0, v1
	v_mul_u32_u24_e32 v0, 0x258, v60
	v_lshlrev_b32_e32 v1, 3, v61
	ds_write2_b64 v101, v[30:31], v[38:39] offset1:15
	ds_write2_b64 v101, v[40:41], v[42:43] offset0:30 offset1:45
	ds_write_b64 v101, v[36:37] offset:480
	ds_write2_b64 v105, v[74:75], v[109:110] offset1:15
	ds_write2_b64 v105, v[111:112], v[24:25] offset0:30 offset1:45
	ds_write_b64 v105, v[86:87] offset:480
	v_add3_u32 v75, 0, v0, v1
	v_mul_u32_u24_e32 v0, 0x258, v68
	v_lshlrev_b32_e32 v1, 3, v69
	ds_write2_b64 v75, v[76:77], v[155:156] offset1:15
	ds_write2_b64 v75, v[167:168], v[22:23] offset0:30 offset1:45
	ds_write_b64 v75, v[157:158] offset:480
	v_add3_u32 v76, 0, v0, v1
	v_mul_u32_u24_e32 v0, 0x258, v70
	v_lshlrev_b32_e32 v1, 3, v71
	v_add3_u32 v77, 0, v0, v1
	v_mul_u32_u24_e32 v0, 0x258, v72
	v_lshlrev_b32_e32 v1, 3, v73
	ds_write2_b64 v76, v[107:108], v[159:160] offset1:15
	ds_write2_b64 v76, v[165:166], v[20:21] offset0:30 offset1:45
	ds_write_b64 v76, v[161:162] offset:480
	ds_write2_b64 v77, v[141:142], v[177:178] offset1:15
	ds_write2_b64 v77, v[80:81], v[18:19] offset0:30 offset1:45
	ds_write_b64 v77, v[145:146] offset:480
	v_add3_u32 v80, 0, v0, v1
	v_add_u32_e32 v107, 0x2c00, v136
	v_add_u32_e32 v108, 0x3400, v136
	v_add_u32_e32 v200, 0x5c00, v136
	v_add_u32_e32 v201, 0x6400, v136
	v_add_u32_e32 v74, 0xc00, v136
	v_add_u32_e32 v73, 0x2400, v136
	v_add_u32_e32 v72, 0x3c00, v136
	v_add_u32_e32 v71, 0x5400, v136
	v_add_u32_e32 v70, 0x6c00, v136
	v_fma_f64 v[185:186], v[52:53], s[16:17], v[46:47]
	v_fma_f64 v[189:190], v[52:53], s[16:17], v[8:9]
	v_fma_f64 v[195:196], v[6:7], s[16:17], v[26:27]
	v_fma_f64 v[197:198], v[6:7], s[16:17], v[2:3]
	ds_write2_b64 v80, v[10:11], v[28:29] offset1:15
	ds_write2_b64 v80, v[14:15], v[16:17] offset0:30 offset1:45
	ds_write_b64 v80, v[12:13] offset:480
	s_waitcnt lgkmcnt(0)
	s_barrier
	v_lshl_add_u32 v87, v140, 3, 0
	ds_read_b64 v[60:61], v99
	ds_read_b64 v[58:59], v87
	ds_read2_b64 v[44:47], v107 offset0:92 offset1:217
	ds_read2_b64 v[16:19], v108 offset0:86 offset1:211
	;; [unrolled: 1-line block ×12, first 2 shown]
	ds_read_b64 v[56:57], v136
	ds_read_b64 v[68:69], v96
	;; [unrolled: 1-line block ×4, first 2 shown]
	s_waitcnt lgkmcnt(0)
	s_barrier
	ds_write2_b64 v101, v[50:51], v[62:63] offset1:15
	ds_write2_b64 v101, v[64:65], v[66:67] offset0:30 offset1:45
	ds_write_b64 v101, v[54:55] offset:480
	ds_write2_b64 v105, v[113:114], v[147:148] offset1:15
	ds_write2_b64 v105, v[151:152], v[103:104] offset0:30 offset1:45
	ds_write_b64 v105, v[143:144] offset:480
	;; [unrolled: 3-line block ×6, first 2 shown]
	v_add_u32_e32 v50, 0xffffffb5, v122
	v_cndmask_b32_e64 v101, v50, v122, s[0:1]
	v_mul_i32_i24_e32 v104, 9, v101
	v_mov_b32_e32 v105, 0
	v_lshlrev_b64 v[50:51], 4, v[104:105]
	v_mov_b32_e32 v54, s9
	v_add_co_u32_e64 v50, s[0:1], s8, v50
	v_addc_co_u32_e64 v51, s[0:1], v54, v51, s[0:1]
	s_waitcnt lgkmcnt(0)
	s_barrier
	global_load_dwordx4 v[62:65], v[50:51], off offset:1152
	global_load_dwordx4 v[75:78], v[50:51], off offset:1168
	global_load_dwordx4 v[79:82], v[50:51], off offset:1184
	global_load_dwordx4 v[83:86], v[50:51], off offset:1200
	global_load_dwordx4 v[109:112], v[50:51], off offset:1216
	global_load_dwordx4 v[140:143], v[50:51], off offset:1232
	s_movk_i32 s0, 0xdb
	v_mul_lo_u16_sdwa v54, v123, s0 dst_sel:DWORD dst_unused:UNUSED_PAD src0_sel:BYTE_0 src1_sel:DWORD
	v_lshrrev_b16_e32 v103, 14, v54
	v_mul_lo_u16_e32 v54, 0x4b, v103
	v_sub_u16_e32 v104, v123, v54
	v_mov_b32_e32 v54, 9
	v_mul_u32_u24_sdwa v54, v104, v54 dst_sel:DWORD dst_unused:UNUSED_PAD src0_sel:BYTE_0 src1_sel:DWORD
	v_lshlrev_b32_e32 v208, 4, v54
	global_load_dwordx4 v[144:147], v[50:51], off offset:1248
	global_load_dwordx4 v[148:151], v208, s[8:9] offset:1200
	global_load_dwordx4 v[152:155], v[50:51], off offset:1264
	global_load_dwordx4 v[156:159], v[50:51], off offset:1280
	global_load_dwordx4 v[160:163], v208, s[8:9] offset:1152
	global_load_dwordx4 v[164:167], v208, s[8:9] offset:1248
	;; [unrolled: 1-line block ×3, first 2 shown]
	ds_read_b64 v[113:114], v99
	ds_read_b64 v[228:229], v87
	ds_read2_b64 v[172:175], v107 offset0:92 offset1:217
	global_load_dwordx4 v[176:179], v208, s[8:9] offset:1184
	global_load_dwordx4 v[180:183], v208, s[8:9] offset:1168
	s_mov_b32 s0, 0xb4e9
	ds_read2_b64 v[184:187], v108 offset0:86 offset1:211
	ds_read2_b64 v[188:191], v115 offset0:74 offset1:199
	;; [unrolled: 1-line block ×5, first 2 shown]
	ds_read_b64 v[224:225], v96
	ds_read_b64 v[54:55], v97
	;; [unrolled: 1-line block ×3, first 2 shown]
	global_load_dwordx4 v[204:207], v208, s[8:9] offset:1216
	v_mul_u32_u24_sdwa v87, v124, s0 dst_sel:DWORD dst_unused:UNUSED_PAD src0_sel:WORD_0 src1_sel:DWORD
	ds_read_b64 v[232:233], v136
	v_sub_u16_sdwa v107, v124, v87 dst_sel:DWORD dst_unused:UNUSED_PAD src0_sel:DWORD src1_sel:WORD_1
	v_lshrrev_b16_e32 v107, 1, v107
	v_add_u16_sdwa v87, v107, v87 dst_sel:DWORD dst_unused:UNUSED_PAD src0_sel:DWORD src1_sel:WORD_1
	v_lshrrev_b16_e32 v107, 6, v87
	v_mul_lo_u16_e32 v87, 0x4b, v107
	v_sub_u16_e32 v108, v124, v87
	v_mul_u32_u24_e32 v87, 9, v108
	v_lshlrev_b32_e32 v87, 4, v87
	s_mov_b32 s0, 0x9b97f4a8
	s_mov_b32 s1, 0x3fe9e377
	s_waitcnt vmcnt(15)
	v_mul_f64 v[230:231], v[60:61], v[64:65]
	s_waitcnt lgkmcnt(11)
	v_mul_f64 v[226:227], v[113:114], v[64:65]
	global_load_dwordx4 v[64:67], v208, s[8:9] offset:1264
	s_nop 0
	global_load_dwordx4 v[208:211], v208, s[8:9] offset:1280
	s_waitcnt vmcnt(16) lgkmcnt(3)
	v_mul_f64 v[234:235], v[224:225], v[77:78]
	v_mul_f64 v[77:78], v[68:69], v[77:78]
	global_load_dwordx4 v[212:215], v87, s[8:9] offset:1168
	global_load_dwordx4 v[216:219], v87, s[8:9] offset:1152
	ds_read2_b64 v[220:223], v74 offset0:116 offset1:241
	v_fma_f64 v[238:239], v[113:114], v[62:63], v[230:231]
	s_waitcnt vmcnt(17)
	v_mul_f64 v[113:114], v[228:229], v[81:82]
	v_fma_f64 v[236:237], v[60:61], v[62:63], -v[226:227]
	v_fma_f64 v[234:235], v[68:69], v[75:76], -v[234:235]
	v_fma_f64 v[240:241], v[224:225], v[75:76], v[77:78]
	v_mul_f64 v[68:69], v[58:59], v[81:82]
	global_load_dwordx4 v[60:63], v87, s[8:9] offset:1200
	global_load_dwordx4 v[74:77], v87, s[8:9] offset:1184
	s_waitcnt vmcnt(17)
	v_mul_f64 v[230:231], v[18:19], v[111:112]
	v_mul_f64 v[81:82], v[172:173], v[85:86]
	v_fma_f64 v[242:243], v[58:59], v[79:80], -v[113:114]
	v_mul_f64 v[58:59], v[186:187], v[111:112]
	global_load_dwordx4 v[111:114], v87, s[8:9] offset:1232
	global_load_dwordx4 v[224:227], v87, s[8:9] offset:1216
	v_mul_f64 v[85:86], v[44:45], v[85:86]
	v_fma_f64 v[244:245], v[228:229], v[79:80], v[68:69]
	s_waitcnt vmcnt(17)
	v_mul_f64 v[68:69], v[10:11], v[146:147]
	v_fma_f64 v[246:247], v[44:45], v[83:84], -v[81:82]
	v_mul_f64 v[44:45], v[188:189], v[142:143]
	v_fma_f64 v[82:83], v[172:173], v[83:84], v[85:86]
	v_fma_f64 v[172:173], v[18:19], v[109:110], -v[58:59]
	v_mul_f64 v[18:19], v[40:41], v[142:143]
	v_fma_f64 v[109:110], v[186:187], v[109:110], v[230:231]
	global_load_dwordx4 v[78:81], v87, s[8:9] offset:1264
	global_load_dwordx4 v[228:231], v87, s[8:9] offset:1248
	s_waitcnt vmcnt(18)
	v_mul_f64 v[84:85], v[174:175], v[150:151]
	v_mul_f64 v[58:59], v[194:195], v[146:147]
	v_fma_f64 v[186:187], v[40:41], v[140:141], -v[44:45]
	v_fma_f64 v[194:195], v[194:195], v[144:145], v[68:69]
	s_waitcnt vmcnt(17)
	v_mul_f64 v[40:41], v[36:37], v[154:155]
	v_fma_f64 v[188:189], v[188:189], v[140:141], v[18:19]
	v_mul_f64 v[18:19], v[46:47], v[150:151]
	s_waitcnt vmcnt(15)
	v_mul_f64 v[68:69], v[32:33], v[162:163]
	v_fma_f64 v[250:251], v[46:47], v[148:149], -v[84:85]
	global_load_dwordx4 v[44:47], v87, s[8:9] offset:1280
	v_fma_f64 v[248:249], v[10:11], v[144:145], -v[58:59]
	v_mul_f64 v[10:11], v[196:197], v[154:155]
	v_mul_f64 v[58:59], v[202:203], v[158:159]
	ds_read2_b64 v[144:147], v73 offset0:98 offset1:223
	v_fma_f64 v[154:155], v[174:175], v[148:149], v[18:19]
	v_mul_f64 v[18:19], v[6:7], v[158:159]
	s_waitcnt lgkmcnt(1)
	v_fma_f64 v[84:85], v[220:221], v[160:161], v[68:69]
	ds_read2_b64 v[140:143], v130 offset0:107 offset1:232
	ds_read2_b64 v[148:151], v71 offset0:62 offset1:187
	v_fma_f64 v[36:37], v[36:37], v[152:153], -v[10:11]
	v_mul_f64 v[10:11], v[220:221], v[162:163]
	v_fma_f64 v[158:159], v[6:7], v[156:157], -v[58:59]
	s_waitcnt vmcnt(14)
	v_mul_f64 v[6:7], v[190:191], v[170:171]
	v_fma_f64 v[156:157], v[202:203], v[156:157], v[18:19]
	v_mul_f64 v[18:19], v[42:43], v[170:171]
	v_fma_f64 v[152:153], v[196:197], v[152:153], v[40:41]
	ds_read2_b64 v[68:71], v70 offset0:44 offset1:169
	v_fma_f64 v[162:163], v[32:33], v[160:161], -v[10:11]
	s_waitcnt vmcnt(12) lgkmcnt(2)
	v_mul_f64 v[10:11], v[140:141], v[182:183]
	v_fma_f64 v[160:161], v[42:43], v[168:169], -v[6:7]
	v_mul_f64 v[6:7], v[144:145], v[178:179]
	v_mul_f64 v[32:33], v[28:29], v[182:183]
	ds_read2_b64 v[40:43], v72 offset0:80 offset1:205
	v_fma_f64 v[168:169], v[190:191], v[168:169], v[18:19]
	v_mul_f64 v[18:19], v[24:25], v[178:179]
	v_add_f64 v[72:73], v[240:241], -v[82:83]
	v_fma_f64 v[170:171], v[28:29], v[180:181], -v[10:11]
	s_waitcnt vmcnt(11) lgkmcnt(0)
	v_mul_f64 v[10:11], v[40:41], v[206:207]
	v_fma_f64 v[174:175], v[24:25], v[176:177], -v[6:7]
	v_mul_f64 v[6:7], v[12:13], v[166:167]
	v_fma_f64 v[140:141], v[140:141], v[180:181], v[32:33]
	v_mul_f64 v[32:33], v[148:149], v[166:167]
	v_mul_f64 v[28:29], v[20:21], v[206:207]
	v_fma_f64 v[144:145], v[144:145], v[176:177], v[18:19]
	v_add_f64 v[190:191], v[250:251], v[160:161]
	v_fma_f64 v[166:167], v[20:21], v[204:205], -v[10:11]
	v_fma_f64 v[148:149], v[148:149], v[164:165], v[6:7]
	s_waitcnt vmcnt(10)
	v_mul_f64 v[6:7], v[38:39], v[66:67]
	v_mul_f64 v[10:11], v[198:199], v[66:67]
	v_fma_f64 v[178:179], v[12:13], v[164:165], -v[32:33]
	s_waitcnt vmcnt(9)
	v_mul_f64 v[12:13], v[68:69], v[210:211]
	v_mul_f64 v[18:19], v[0:1], v[210:211]
	v_fma_f64 v[176:177], v[40:41], v[204:205], v[28:29]
	s_waitcnt vmcnt(7)
	v_mul_f64 v[20:21], v[34:35], v[218:219]
	v_add_f64 v[66:67], v[234:235], -v[246:247]
	v_fma_f64 v[180:181], v[198:199], v[64:65], v[6:7]
	v_mul_f64 v[6:7], v[142:143], v[214:215]
	v_fma_f64 v[164:165], v[38:39], v[64:65], -v[10:11]
	v_mul_f64 v[10:11], v[222:223], v[218:219]
	v_fma_f64 v[182:183], v[0:1], v[208:209], -v[12:13]
	v_fma_f64 v[86:87], v[68:69], v[208:209], v[18:19]
	v_mul_f64 v[12:13], v[30:31], v[214:215]
	s_waitcnt vmcnt(5)
	v_mul_f64 v[18:19], v[146:147], v[76:77]
	v_mul_f64 v[32:33], v[184:185], v[62:63]
	v_fma_f64 v[28:29], v[30:31], v[212:213], -v[6:7]
	s_waitcnt vmcnt(3)
	v_mul_f64 v[30:31], v[42:43], v[226:227]
	v_fma_f64 v[10:11], v[34:35], v[216:217], -v[10:11]
	v_fma_f64 v[0:1], v[222:223], v[216:217], v[20:21]
	v_mul_f64 v[24:25], v[26:27], v[76:77]
	v_mul_f64 v[34:35], v[16:17], v[62:63]
	v_fma_f64 v[20:21], v[142:143], v[212:213], v[12:13]
	v_fma_f64 v[12:13], v[26:27], v[74:75], -v[18:19]
	v_mul_f64 v[18:19], v[22:23], v[226:227]
	v_fma_f64 v[26:27], v[16:17], v[60:61], -v[32:33]
	v_mul_f64 v[32:33], v[192:193], v[113:114]
	v_mul_f64 v[38:39], v[8:9], v[113:114]
	v_fma_f64 v[16:17], v[22:23], v[224:225], -v[30:31]
	v_add_f64 v[30:31], v[246:247], v[186:187]
	v_fma_f64 v[6:7], v[146:147], v[74:75], v[24:25]
	v_fma_f64 v[24:25], v[184:185], v[60:61], v[34:35]
	;; [unrolled: 1-line block ×3, first 2 shown]
	s_waitcnt vmcnt(1)
	v_mul_f64 v[40:41], v[150:151], v[230:231]
	v_mul_f64 v[42:43], v[14:15], v[230:231]
	;; [unrolled: 1-line block ×3, first 2 shown]
	v_fma_f64 v[34:35], v[8:9], v[111:112], -v[32:33]
	v_fma_f64 v[22:23], v[192:193], v[111:112], v[38:39]
	v_add_f64 v[32:33], v[56:57], v[234:235]
	v_fma_f64 v[30:31], v[30:31], -0.5, v[56:57]
	v_add_f64 v[38:39], v[240:241], -v[152:153]
	v_fma_f64 v[14:15], v[14:15], v[228:229], -v[40:41]
	v_fma_f64 v[8:9], v[150:151], v[228:229], v[42:43]
	v_fma_f64 v[58:59], v[4:5], v[78:79], -v[58:59]
	v_mul_f64 v[4:5], v[4:5], v[80:81]
	s_waitcnt vmcnt(0)
	v_mul_f64 v[40:41], v[70:71], v[46:47]
	v_add_f64 v[42:43], v[32:33], v[246:247]
	v_add_f64 v[60:61], v[234:235], v[36:37]
	v_fma_f64 v[62:63], v[38:39], s[4:5], v[30:31]
	v_add_f64 v[64:65], v[82:83], -v[188:189]
	v_add_f64 v[68:69], v[36:37], -v[186:187]
	v_mul_f64 v[46:47], v[2:3], v[46:47]
	v_fma_f64 v[32:33], v[200:201], v[78:79], v[4:5]
	v_fma_f64 v[4:5], v[2:3], v[44:45], -v[40:41]
	v_add_f64 v[42:43], v[42:43], v[186:187]
	v_fma_f64 v[56:57], v[60:61], -0.5, v[56:57]
	v_add_f64 v[40:41], v[82:83], v[188:189]
	v_fma_f64 v[60:61], v[64:65], s[6:7], v[62:63]
	v_add_f64 v[62:63], v[66:67], v[68:69]
	v_fma_f64 v[30:31], v[38:39], s[10:11], v[30:31]
	v_fma_f64 v[2:3], v[70:71], v[44:45], v[46:47]
	v_add_f64 v[44:45], v[232:233], v[240:241]
	v_add_f64 v[46:47], v[42:43], v[36:37]
	v_fma_f64 v[42:43], v[64:65], s[10:11], v[56:57]
	v_fma_f64 v[40:41], v[40:41], -0.5, v[232:233]
	v_add_f64 v[66:67], v[234:235], -v[36:37]
	v_fma_f64 v[68:69], v[62:63], s[16:17], v[60:61]
	v_add_f64 v[60:61], v[246:247], -v[234:235]
	v_add_f64 v[36:37], v[186:187], -v[36:37]
	v_fma_f64 v[56:57], v[64:65], s[4:5], v[56:57]
	v_fma_f64 v[30:31], v[64:65], s[14:15], v[30:31]
	;; [unrolled: 1-line block ×3, first 2 shown]
	v_add_f64 v[44:45], v[44:45], v[82:83]
	v_fma_f64 v[64:65], v[66:67], s[10:11], v[40:41]
	v_add_f64 v[70:71], v[246:247], -v[186:187]
	v_add_f64 v[74:75], v[152:153], -v[188:189]
	v_add_f64 v[36:37], v[60:61], v[36:37]
	v_add_f64 v[60:61], v[240:241], v[152:153]
	v_fma_f64 v[38:39], v[38:39], s[14:15], v[56:57]
	v_fma_f64 v[111:112], v[62:63], s[16:17], v[30:31]
	v_add_f64 v[44:45], v[44:45], v[188:189]
	v_add_f64 v[30:31], v[172:173], v[248:249]
	v_fma_f64 v[56:57], v[70:71], s[14:15], v[64:65]
	v_add_f64 v[62:63], v[72:73], v[74:75]
	v_fma_f64 v[72:73], v[36:37], s[16:17], v[42:43]
	v_fma_f64 v[42:43], v[60:61], -0.5, v[232:233]
	v_fma_f64 v[74:75], v[36:37], s[16:17], v[38:39]
	v_add_f64 v[36:37], v[236:237], v[242:243]
	v_fma_f64 v[40:41], v[66:67], s[4:5], v[40:41]
	v_add_f64 v[113:114], v[44:45], v[152:153]
	v_fma_f64 v[30:31], v[30:31], -0.5, v[236:237]
	v_add_f64 v[38:39], v[244:245], -v[156:157]
	v_fma_f64 v[142:143], v[62:63], s[16:17], v[56:57]
	v_fma_f64 v[44:45], v[70:71], s[4:5], v[42:43]
	v_add_f64 v[56:57], v[82:83], -v[240:241]
	v_add_f64 v[60:61], v[188:189], -v[152:153]
	v_fma_f64 v[42:43], v[70:71], s[10:11], v[42:43]
	v_add_f64 v[36:37], v[36:37], v[172:173]
	v_fma_f64 v[40:41], v[70:71], s[6:7], v[40:41]
	v_fma_f64 v[64:65], v[38:39], s[4:5], v[30:31]
	v_add_f64 v[76:77], v[109:110], -v[194:195]
	v_add_f64 v[78:79], v[242:243], -v[172:173]
	;; [unrolled: 1-line block ×3, first 2 shown]
	v_fma_f64 v[44:45], v[66:67], s[14:15], v[44:45]
	v_add_f64 v[56:57], v[56:57], v[60:61]
	v_fma_f64 v[42:43], v[66:67], s[6:7], v[42:43]
	v_add_f64 v[36:37], v[36:37], v[248:249]
	v_add_f64 v[60:61], v[242:243], v[158:159]
	;; [unrolled: 1-line block ×3, first 2 shown]
	v_fma_f64 v[146:147], v[62:63], s[16:17], v[40:41]
	v_add_f64 v[40:41], v[244:245], v[156:157]
	v_fma_f64 v[64:65], v[76:77], s[6:7], v[64:65]
	v_add_f64 v[66:67], v[78:79], v[80:81]
	v_fma_f64 v[150:151], v[56:57], s[16:17], v[44:45]
	v_fma_f64 v[152:153], v[56:57], s[16:17], v[42:43]
	v_fma_f64 v[42:43], v[60:61], -0.5, v[236:237]
	v_add_f64 v[78:79], v[36:37], v[158:159]
	v_fma_f64 v[36:37], v[70:71], -0.5, v[238:239]
	v_add_f64 v[56:57], v[242:243], -v[158:159]
	v_add_f64 v[60:61], v[172:173], -v[248:249]
	v_fma_f64 v[40:41], v[40:41], -0.5, v[238:239]
	v_fma_f64 v[44:45], v[66:67], s[16:17], v[64:65]
	v_fma_f64 v[30:31], v[38:39], s[10:11], v[30:31]
	v_add_f64 v[64:65], v[172:173], -v[242:243]
	v_add_f64 v[70:71], v[248:249], -v[158:159]
	v_add_f64 v[80:81], v[238:239], v[244:245]
	v_fma_f64 v[82:83], v[56:57], s[10:11], v[36:37]
	v_add_f64 v[158:159], v[244:245], -v[109:110]
	v_add_f64 v[172:173], v[156:157], -v[194:195]
	v_fma_f64 v[184:185], v[60:61], s[4:5], v[40:41]
	v_add_f64 v[186:187], v[109:110], -v[244:245]
	v_add_f64 v[188:189], v[194:195], -v[156:157]
	v_fma_f64 v[62:63], v[76:77], s[10:11], v[42:43]
	v_fma_f64 v[42:43], v[76:77], s[4:5], v[42:43]
	v_add_f64 v[64:65], v[64:65], v[70:71]
	v_add_f64 v[70:71], v[80:81], v[109:110]
	v_fma_f64 v[80:81], v[60:61], s[14:15], v[82:83]
	v_add_f64 v[82:83], v[158:159], v[172:173]
	v_fma_f64 v[109:110], v[56:57], s[14:15], v[184:185]
	;; [unrolled: 2-line block ×3, first 2 shown]
	v_fma_f64 v[30:31], v[76:77], s[14:15], v[30:31]
	v_fma_f64 v[40:41], v[60:61], s[10:11], v[40:41]
	;; [unrolled: 1-line block ×4, first 2 shown]
	v_add_f64 v[62:63], v[70:71], v[194:195]
	v_fma_f64 v[70:71], v[82:83], s[16:17], v[80:81]
	v_fma_f64 v[76:77], v[158:159], s[16:17], v[109:110]
	;; [unrolled: 1-line block ×7, first 2 shown]
	v_add_f64 v[66:67], v[62:63], v[156:157]
	v_mul_f64 v[56:57], v[70:71], s[6:7]
	v_mul_f64 v[60:61], v[76:77], s[4:5]
	v_fma_f64 v[64:65], v[82:83], s[16:17], v[36:37]
	v_mul_f64 v[80:81], v[30:31], s[0:1]
	v_fma_f64 v[40:41], v[158:159], s[16:17], v[40:41]
	v_mul_f64 v[62:63], v[42:43], s[16:17]
	v_add_f64 v[36:37], v[46:47], v[78:79]
	v_fma_f64 v[190:191], v[190:191], -0.5, v[52:53]
	v_fma_f64 v[82:83], v[44:45], s[0:1], v[56:57]
	v_fma_f64 v[109:110], v[38:39], s[16:17], v[60:61]
	v_mul_f64 v[44:45], v[44:45], s[14:15]
	v_fma_f64 v[172:173], v[64:65], s[6:7], -v[80:81]
	v_add_f64 v[80:81], v[52:53], v[170:171]
	v_fma_f64 v[156:157], v[40:41], s[4:5], -v[62:63]
	v_mul_f64 v[38:39], v[38:39], s[10:11]
	v_mul_f64 v[40:41], v[40:41], s[16:17]
	;; [unrolled: 1-line block ×3, first 2 shown]
	v_add_f64 v[56:57], v[68:69], v[82:83]
	v_add_f64 v[60:61], v[72:73], v[109:110]
	v_fma_f64 v[184:185], v[70:71], s[0:1], v[44:45]
	v_add_f64 v[70:71], v[68:69], -v[82:83]
	v_add_f64 v[68:69], v[80:81], v[250:251]
	v_add_f64 v[80:81], v[72:73], -v[109:110]
	v_add_f64 v[72:73], v[170:171], v[164:165]
	v_add_f64 v[62:63], v[74:75], v[156:157]
	v_fma_f64 v[186:187], v[76:77], s[16:17], v[38:39]
	v_fma_f64 v[188:189], v[42:43], s[10:11], -v[40:41]
	v_fma_f64 v[158:159], v[30:31], s[14:15], -v[158:159]
	v_add_f64 v[30:31], v[113:114], v[66:67]
	v_add_f64 v[38:39], v[142:143], v[184:185]
	v_add_f64 v[76:77], v[46:47], -v[78:79]
	v_add_f64 v[192:193], v[140:141], -v[180:181]
	;; [unrolled: 1-line block ×8, first 2 shown]
	v_fma_f64 v[52:53], v[72:73], -0.5, v[52:53]
	v_add_f64 v[64:65], v[111:112], v[172:173]
	v_add_f64 v[40:41], v[150:151], v[186:187]
	v_add_f64 v[42:43], v[152:153], v[188:189]
	v_add_f64 v[44:45], v[146:147], v[158:159]
	v_add_f64 v[82:83], v[111:112], -v[172:173]
	v_add_f64 v[109:110], v[68:69], v[160:161]
	v_fma_f64 v[111:112], v[192:193], s[4:5], v[190:191]
	v_add_f64 v[68:69], v[150:151], -v[186:187]
	v_add_f64 v[72:73], v[152:153], -v[188:189]
	;; [unrolled: 1-line block ×3, first 2 shown]
	v_add_f64 v[146:147], v[154:155], v[168:169]
	v_add_f64 v[142:143], v[142:143], v[156:157]
	v_fma_f64 v[150:151], v[192:193], s[10:11], v[190:191]
	v_fma_f64 v[152:153], v[113:114], s[10:11], v[52:53]
	v_add_f64 v[156:157], v[250:251], -v[170:171]
	v_add_f64 v[158:159], v[160:161], -v[164:165]
	v_add_f64 v[109:110], v[109:110], v[164:165]
	v_fma_f64 v[111:112], v[113:114], s[6:7], v[111:112]
	v_add_f64 v[172:173], v[54:55], v[140:141]
	v_fma_f64 v[146:147], v[146:147], -0.5, v[54:55]
	v_add_f64 v[164:165], v[170:171], -v[164:165]
	v_fma_f64 v[150:151], v[113:114], s[14:15], v[150:151]
	v_fma_f64 v[152:153], v[192:193], s[6:7], v[152:153]
	;; [unrolled: 1-line block ×3, first 2 shown]
	v_add_f64 v[113:114], v[156:157], v[158:159]
	v_fma_f64 v[111:112], v[142:143], s[16:17], v[111:112]
	v_add_f64 v[156:157], v[140:141], v[180:181]
	v_add_f64 v[158:159], v[172:173], v[154:155]
	v_fma_f64 v[170:171], v[164:165], s[10:11], v[146:147]
	v_add_f64 v[160:161], v[250:251], -v[160:161]
	v_add_f64 v[172:173], v[140:141], -v[154:155]
	;; [unrolled: 1-line block ×3, first 2 shown]
	v_fma_f64 v[52:53], v[192:193], s[14:15], v[52:53]
	v_fma_f64 v[142:143], v[142:143], s[16:17], v[150:151]
	v_fma_f64 v[150:151], v[113:114], s[16:17], v[152:153]
	v_add_f64 v[152:153], v[166:167], v[178:179]
	v_fma_f64 v[54:55], v[156:157], -0.5, v[54:55]
	v_add_f64 v[156:157], v[158:159], v[168:169]
	v_fma_f64 v[158:159], v[160:161], s[14:15], v[170:171]
	v_add_f64 v[170:171], v[172:173], v[184:185]
	v_fma_f64 v[52:53], v[113:114], s[16:17], v[52:53]
	v_fma_f64 v[113:114], v[164:165], s[4:5], v[146:147]
	v_add_f64 v[172:173], v[162:163], v[174:175]
	v_fma_f64 v[152:153], v[152:153], -0.5, v[162:163]
	v_add_f64 v[184:185], v[144:145], -v[86:87]
	v_add_f64 v[156:157], v[156:157], v[180:181]
	v_add_f64 v[140:141], v[154:155], -v[140:141]
	v_add_f64 v[154:155], v[168:169], -v[180:181]
	;; [unrolled: 1-line block ×3, first 2 shown]
	v_fma_f64 v[113:114], v[160:161], s[6:7], v[113:114]
	v_add_f64 v[168:169], v[172:173], v[166:167]
	v_add_f64 v[186:187], v[174:175], -v[166:167]
	v_fma_f64 v[172:173], v[184:185], s[4:5], v[152:153]
	v_add_f64 v[188:189], v[182:183], -v[178:179]
	v_fma_f64 v[146:147], v[160:161], s[4:5], v[54:55]
	v_fma_f64 v[158:159], v[170:171], s[16:17], v[158:159]
	v_add_f64 v[140:141], v[140:141], v[154:155]
	v_fma_f64 v[113:114], v[170:171], s[16:17], v[113:114]
	v_fma_f64 v[54:55], v[160:161], s[10:11], v[54:55]
	v_add_f64 v[154:155], v[174:175], v[182:183]
	v_add_f64 v[160:161], v[168:169], v[178:179]
	;; [unrolled: 1-line block ×3, first 2 shown]
	v_fma_f64 v[170:171], v[180:181], s[6:7], v[172:173]
	v_add_f64 v[172:173], v[186:187], v[188:189]
	v_add_f64 v[186:187], v[144:145], v[86:87]
	v_fma_f64 v[146:147], v[164:165], s[14:15], v[146:147]
	v_fma_f64 v[54:55], v[164:165], s[6:7], v[54:55]
	v_fma_f64 v[154:155], v[154:155], -0.5, v[162:163]
	v_add_f64 v[164:165], v[174:175], -v[182:183]
	v_fma_f64 v[162:163], v[168:169], -0.5, v[84:85]
	v_add_f64 v[160:161], v[160:161], v[182:183]
	v_fma_f64 v[168:169], v[172:173], s[16:17], v[170:171]
	v_add_f64 v[170:171], v[166:167], -v[178:179]
	v_fma_f64 v[186:187], v[186:187], -0.5, v[84:85]
	v_add_f64 v[166:167], v[166:167], -v[174:175]
	v_add_f64 v[174:175], v[178:179], -v[182:183]
	;; [unrolled: 1-line block ×3, first 2 shown]
	v_fma_f64 v[178:179], v[164:165], s[10:11], v[162:163]
	v_add_f64 v[190:191], v[86:87], -v[148:149]
	v_add_f64 v[194:195], v[176:177], -v[144:145]
	;; [unrolled: 1-line block ×3, first 2 shown]
	v_fma_f64 v[192:193], v[170:171], s[4:5], v[186:187]
	v_add_f64 v[84:85], v[84:85], v[144:145]
	v_fma_f64 v[152:153], v[184:185], s[10:11], v[152:153]
	v_fma_f64 v[188:189], v[180:181], s[10:11], v[154:155]
	;; [unrolled: 1-line block ×3, first 2 shown]
	v_add_f64 v[166:167], v[166:167], v[174:175]
	v_fma_f64 v[144:145], v[170:171], s[14:15], v[178:179]
	v_add_f64 v[174:175], v[182:183], v[190:191]
	v_fma_f64 v[178:179], v[170:171], s[10:11], v[186:187]
	v_fma_f64 v[182:183], v[164:165], s[14:15], v[192:193]
	v_add_f64 v[186:187], v[194:195], v[196:197]
	v_add_f64 v[84:85], v[84:85], v[176:177]
	v_fma_f64 v[162:163], v[164:165], s[4:5], v[162:163]
	v_fma_f64 v[154:155], v[184:185], s[14:15], v[154:155]
	;; [unrolled: 1-line block ×7, first 2 shown]
	v_add_f64 v[84:85], v[84:85], v[148:149]
	v_fma_f64 v[148:149], v[170:171], s[6:7], v[162:163]
	v_fma_f64 v[154:155], v[166:167], s[16:17], v[154:155]
	;; [unrolled: 1-line block ×5, first 2 shown]
	v_mul_f64 v[166:167], v[144:145], s[6:7]
	v_mul_f64 v[170:171], v[178:179], s[4:5]
	v_add_f64 v[84:85], v[84:85], v[86:87]
	v_fma_f64 v[86:87], v[174:175], s[16:17], v[148:149]
	v_mul_f64 v[172:173], v[154:155], s[16:17]
	v_mul_f64 v[148:149], v[152:153], s[0:1]
	v_fma_f64 v[146:147], v[140:141], s[16:17], v[146:147]
	v_fma_f64 v[54:55], v[140:141], s[16:17], v[54:55]
	;; [unrolled: 1-line block ×4, first 2 shown]
	v_mul_f64 v[162:163], v[162:163], s[10:11]
	v_mul_f64 v[174:175], v[86:87], s[0:1]
	v_fma_f64 v[172:173], v[164:165], s[4:5], -v[172:173]
	v_mul_f64 v[168:169], v[168:169], s[14:15]
	v_mul_f64 v[164:165], v[164:165], s[16:17]
	v_fma_f64 v[86:87], v[86:87], s[6:7], -v[148:149]
	v_add_f64 v[140:141], v[109:110], v[160:161]
	v_add_f64 v[148:149], v[111:112], v[166:167]
	v_fma_f64 v[162:163], v[178:179], s[16:17], v[162:163]
	v_fma_f64 v[152:153], v[152:153], s[14:15], -v[174:175]
	v_add_f64 v[174:175], v[48:49], v[28:29]
	v_add_f64 v[178:179], v[26:27], v[34:35]
	v_fma_f64 v[144:145], v[144:145], s[0:1], v[168:169]
	v_fma_f64 v[154:155], v[154:155], s[10:11], -v[164:165]
	v_add_f64 v[164:165], v[142:143], v[86:87]
	v_add_f64 v[109:110], v[109:110], -v[160:161]
	v_add_f64 v[111:112], v[111:112], -v[166:167]
	;; [unrolled: 1-line block ×3, first 2 shown]
	v_add_f64 v[160:161], v[174:175], v[26:27]
	v_fma_f64 v[166:167], v[178:179], -0.5, v[48:49]
	v_add_f64 v[174:175], v[20:21], -v[32:33]
	v_add_f64 v[142:143], v[28:29], v[58:59]
	v_add_f64 v[176:177], v[150:151], v[170:171]
	;; [unrolled: 1-line block ×5, first 2 shown]
	v_add_f64 v[150:151], v[150:151], -v[170:171]
	v_add_f64 v[52:53], v[52:53], -v[172:173]
	;; [unrolled: 1-line block ×4, first 2 shown]
	v_add_f64 v[156:157], v[160:161], v[34:35]
	v_fma_f64 v[158:159], v[174:175], s[4:5], v[166:167]
	v_add_f64 v[160:161], v[24:25], -v[22:23]
	v_add_f64 v[170:171], v[28:29], -v[26:27]
	;; [unrolled: 1-line block ×3, first 2 shown]
	v_fma_f64 v[48:49], v[142:143], -0.5, v[48:49]
	v_add_f64 v[184:185], v[146:147], v[162:163]
	v_add_f64 v[186:187], v[54:55], v[154:155]
	;; [unrolled: 1-line block ×3, first 2 shown]
	v_add_f64 v[146:147], v[146:147], -v[162:163]
	v_add_f64 v[142:143], v[54:55], -v[154:155]
	;; [unrolled: 1-line block ×3, first 2 shown]
	v_add_f64 v[54:55], v[156:157], v[58:59]
	v_fma_f64 v[113:114], v[160:161], s[6:7], v[158:159]
	v_add_f64 v[156:157], v[170:171], v[172:173]
	v_fma_f64 v[158:159], v[174:175], s[10:11], v[166:167]
	v_fma_f64 v[162:163], v[160:161], s[10:11], v[48:49]
	v_add_f64 v[154:155], v[24:25], v[22:23]
	v_add_f64 v[166:167], v[26:27], -v[28:29]
	v_add_f64 v[170:171], v[34:35], -v[58:59]
	v_add_f64 v[172:173], v[50:51], v[20:21]
	v_add_f64 v[28:29], v[28:29], -v[58:59]
	v_fma_f64 v[58:59], v[156:157], s[16:17], v[113:114]
	v_fma_f64 v[113:114], v[160:161], s[14:15], v[158:159]
	;; [unrolled: 1-line block ×3, first 2 shown]
	v_add_f64 v[162:163], v[20:21], v[32:33]
	v_fma_f64 v[48:49], v[160:161], s[4:5], v[48:49]
	v_fma_f64 v[154:155], v[154:155], -0.5, v[50:51]
	v_add_f64 v[160:161], v[166:167], v[170:171]
	v_add_f64 v[166:167], v[172:173], v[24:25]
	v_add_f64 v[26:27], v[26:27], -v[34:35]
	v_add_f64 v[34:35], v[20:21], -v[24:25]
	;; [unrolled: 1-line block ×3, first 2 shown]
	v_fma_f64 v[50:51], v[162:163], -0.5, v[50:51]
	v_fma_f64 v[48:49], v[174:175], s[14:15], v[48:49]
	v_fma_f64 v[170:171], v[28:29], s[10:11], v[154:155]
	v_fma_f64 v[154:155], v[28:29], s[4:5], v[154:155]
	v_fma_f64 v[113:114], v[156:157], s[16:17], v[113:114]
	v_fma_f64 v[156:157], v[160:161], s[16:17], v[158:159]
	v_add_f64 v[158:159], v[166:167], v[22:23]
	v_add_f64 v[20:21], v[24:25], -v[20:21]
	v_fma_f64 v[166:167], v[26:27], s[4:5], v[50:51]
	v_add_f64 v[22:23], v[22:23], -v[32:33]
	v_fma_f64 v[48:49], v[160:161], s[16:17], v[48:49]
	v_add_f64 v[160:161], v[16:17], v[14:15]
	v_fma_f64 v[162:163], v[26:27], s[14:15], v[170:171]
	v_add_f64 v[24:25], v[10:11], v[12:13]
	v_fma_f64 v[154:155], v[26:27], s[6:7], v[154:155]
	v_fma_f64 v[26:27], v[26:27], s[10:11], v[50:51]
	v_add_f64 v[34:35], v[34:35], v[172:173]
	v_fma_f64 v[50:51], v[28:29], s[14:15], v[166:167]
	v_add_f64 v[20:21], v[20:21], v[22:23]
	v_fma_f64 v[160:161], v[160:161], -0.5, v[10:11]
	v_add_f64 v[170:171], v[6:7], -v[2:3]
	v_add_f64 v[24:25], v[24:25], v[16:17]
	v_add_f64 v[32:33], v[158:159], v[32:33]
	v_fma_f64 v[26:27], v[28:29], s[6:7], v[26:27]
	v_fma_f64 v[158:159], v[34:35], s[16:17], v[162:163]
	;; [unrolled: 1-line block ×4, first 2 shown]
	v_add_f64 v[50:51], v[12:13], v[4:5]
	v_add_f64 v[154:155], v[18:19], v[8:9]
	v_fma_f64 v[22:23], v[170:171], s[4:5], v[160:161]
	v_add_f64 v[24:25], v[24:25], v[14:15]
	v_fma_f64 v[20:21], v[20:21], s[16:17], v[26:27]
	v_fma_f64 v[26:27], v[170:171], s[10:11], v[160:161]
	v_add_f64 v[160:161], v[6:7], v[2:3]
	v_add_f64 v[166:167], v[12:13], -v[16:17]
	v_add_f64 v[172:173], v[4:5], -v[14:15]
	v_fma_f64 v[10:11], v[50:51], -0.5, v[10:11]
	v_fma_f64 v[50:51], v[154:155], -0.5, v[0:1]
	v_add_f64 v[154:155], v[12:13], -v[4:5]
	v_add_f64 v[162:163], v[18:19], -v[8:9]
	v_add_f64 v[24:25], v[24:25], v[4:5]
	v_add_f64 v[12:13], v[16:17], -v[12:13]
	v_add_f64 v[4:5], v[14:15], -v[4:5]
	v_add_f64 v[14:15], v[16:17], -v[14:15]
	v_fma_f64 v[16:17], v[160:161], -0.5, v[0:1]
	v_add_f64 v[166:167], v[166:167], v[172:173]
	v_fma_f64 v[172:173], v[154:155], s[10:11], v[50:51]
	v_add_f64 v[174:175], v[6:7], -v[18:19]
	v_add_f64 v[178:179], v[2:3], -v[8:9]
	v_fma_f64 v[160:161], v[162:163], s[10:11], v[10:11]
	v_add_f64 v[0:1], v[0:1], v[6:7]
	v_add_f64 v[4:5], v[12:13], v[4:5]
	v_fma_f64 v[12:13], v[14:15], s[4:5], v[16:17]
	v_add_f64 v[6:7], v[18:19], -v[6:7]
	v_add_f64 v[190:191], v[8:9], -v[2:3]
	v_fma_f64 v[10:11], v[162:163], s[4:5], v[10:11]
	v_fma_f64 v[22:23], v[162:163], s[6:7], v[22:23]
	;; [unrolled: 1-line block ×4, first 2 shown]
	v_add_f64 v[172:173], v[174:175], v[178:179]
	v_add_f64 v[0:1], v[0:1], v[18:19]
	v_fma_f64 v[18:19], v[154:155], s[4:5], v[50:51]
	v_fma_f64 v[16:17], v[14:15], s[10:11], v[16:17]
	v_fma_f64 v[12:13], v[154:155], s[14:15], v[12:13]
	v_add_f64 v[6:7], v[6:7], v[190:191]
	v_fma_f64 v[10:11], v[170:171], s[14:15], v[10:11]
	v_fma_f64 v[50:51], v[170:171], s[6:7], v[160:161]
	v_fma_f64 v[160:161], v[172:173], s[16:17], v[162:163]
	;; [unrolled: 4-line block ×3, first 2 shown]
	v_fma_f64 v[12:13], v[6:7], s[16:17], v[12:13]
	v_fma_f64 v[10:11], v[4:5], s[16:17], v[10:11]
	;; [unrolled: 1-line block ×3, first 2 shown]
	v_mul_f64 v[18:19], v[160:161], s[6:7]
	v_fma_f64 v[4:5], v[4:5], s[16:17], v[50:51]
	v_add_f64 v[0:1], v[0:1], v[2:3]
	v_fma_f64 v[2:3], v[172:173], s[16:17], v[8:9]
	v_fma_f64 v[6:7], v[6:7], s[16:17], v[14:15]
	v_mul_f64 v[14:15], v[12:13], s[4:5]
	v_mul_f64 v[26:27], v[10:11], s[16:17]
	;; [unrolled: 1-line block ×3, first 2 shown]
	v_fma_f64 v[18:19], v[22:23], s[0:1], v[18:19]
	v_mul_f64 v[22:23], v[22:23], s[14:15]
	v_mul_f64 v[154:155], v[4:5], s[10:11]
	;; [unrolled: 1-line block ×4, first 2 shown]
	v_fma_f64 v[4:5], v[4:5], s[16:17], v[14:15]
	v_fma_f64 v[6:7], v[6:7], s[4:5], -v[26:27]
	v_fma_f64 v[2:3], v[2:3], s[6:7], -v[50:51]
	v_add_f64 v[8:9], v[54:55], v[24:25]
	v_fma_f64 v[22:23], v[160:161], s[0:1], v[22:23]
	s_movk_i32 s0, 0x4a
	v_add_f64 v[14:15], v[58:59], v[18:19]
	v_fma_f64 v[12:13], v[12:13], s[16:17], v[154:155]
	v_fma_f64 v[10:11], v[10:11], s[10:11], -v[162:163]
	v_fma_f64 v[16:17], v[16:17], s[14:15], -v[166:167]
	v_add_f64 v[26:27], v[156:157], v[4:5]
	v_add_f64 v[50:51], v[48:49], v[6:7]
	;; [unrolled: 1-line block ×4, first 2 shown]
	v_add_f64 v[24:25], v[54:55], -v[24:25]
	v_add_f64 v[18:19], v[58:59], -v[18:19]
	;; [unrolled: 1-line block ×6, first 2 shown]
	v_mov_b32_e32 v0, 0x1770
	v_cmp_lt_u32_e64 s[0:1], s0, v122
	v_cndmask_b32_e64 v0, 0, v0, s[0:1]
	v_lshlrev_b32_e32 v1, 3, v101
	v_add_f64 v[162:163], v[158:159], v[22:23]
	v_add_f64 v[48:49], v[158:159], -v[22:23]
	v_add3_u32 v158, 0, v0, v1
	v_add_u32_e32 v159, 0x800, v158
	s_barrier
	ds_write2_b64 v158, v[36:37], v[56:57] offset1:75
	ds_write2_b64 v158, v[60:61], v[62:63] offset0:150 offset1:225
	ds_write2_b64 v159, v[64:65], v[76:77] offset0:44 offset1:119
	v_add_u32_e32 v77, 0x1000, v158
	v_mul_u32_u24_e32 v0, 0x1770, v103
	v_lshlrev_b32_sdwa v1, v100, v104 dst_sel:DWORD dst_unused:UNUSED_PAD src0_sel:DWORD src1_sel:BYTE_0
	v_add_u32_e32 v76, 0xc00, v158
	ds_write2_b64 v77, v[78:79], v[82:83] offset0:88 offset1:163
	v_add3_u32 v78, 0, v0, v1
	v_mul_u32_u24_e32 v0, 0x1770, v107
	v_lshlrev_b32_e32 v1, 3, v108
	ds_write2_b64 v76, v[70:71], v[80:81] offset0:66 offset1:141
	v_add_u32_e32 v81, 0x1000, v78
	v_add3_u32 v82, 0, v0, v1
	ds_write2_b64 v78, v[140:141], v[148:149] offset1:75
	ds_write2_b64 v78, v[176:177], v[180:181] offset0:150 offset1:225
	v_add_u32_e32 v79, 0x800, v78
	v_add_u32_e32 v80, 0xc00, v78
	ds_write2_b64 v81, v[52:53], v[86:87] offset0:88 offset1:163
	v_add_u32_e32 v83, 0x800, v82
	v_add_u32_e32 v86, 0xc00, v82
	;; [unrolled: 1-line block ×3, first 2 shown]
	v_add_f64 v[166:167], v[34:35], v[12:13]
	v_add_f64 v[170:171], v[20:21], v[10:11]
	;; [unrolled: 1-line block ×3, first 2 shown]
	v_add_f64 v[34:35], v[34:35], -v[12:13]
	v_add_f64 v[156:157], v[20:21], -v[10:11]
	;; [unrolled: 1-line block ×3, first 2 shown]
	ds_write2_b64 v79, v[164:165], v[109:110] offset0:44 offset1:119
	ds_write2_b64 v80, v[111:112], v[150:151] offset0:66 offset1:141
	ds_write2_b64 v82, v[8:9], v[14:15] offset1:75
	ds_write2_b64 v82, v[26:27], v[50:51] offset0:150 offset1:225
	ds_write2_b64 v83, v[154:155], v[24:25] offset0:44 offset1:119
	;; [unrolled: 1-line block ×4, first 2 shown]
	s_waitcnt lgkmcnt(0)
	s_barrier
	ds_read_b64 v[108:109], v136
	ds_read2_b64 v[4:7], v91 offset0:95 offset1:220
	ds_read2_b64 v[8:11], v93 offset0:77 offset1:202
	;; [unrolled: 1-line block ×11, first 2 shown]
	ds_read_b64 v[114:115], v98
	ds_read_b64 v[100:101], v99
	;; [unrolled: 1-line block ×6, first 2 shown]
	ds_read_b64 v[70:71], v136 offset:29000
	s_waitcnt lgkmcnt(0)
	s_barrier
	ds_write2_b64 v158, v[30:31], v[38:39] offset1:75
	ds_write2_b64 v158, v[40:41], v[42:43] offset0:150 offset1:225
	ds_write2_b64 v159, v[44:45], v[46:47] offset0:44 offset1:119
	ds_write2_b64 v76, v[66:67], v[68:69] offset0:66 offset1:141
	ds_write2_b64 v77, v[72:73], v[74:75] offset0:88 offset1:163
	ds_write2_b64 v78, v[168:169], v[182:183] offset1:75
	ds_write2_b64 v78, v[184:185], v[186:187] offset0:150 offset1:225
	ds_write2_b64 v79, v[188:189], v[84:85] offset0:44 offset1:119
	ds_write2_b64 v80, v[144:145], v[146:147] offset0:66 offset1:141
	ds_write2_b64 v81, v[142:143], v[152:153] offset0:88 offset1:163
	;; [unrolled: 5-line block ×3, first 2 shown]
	s_waitcnt lgkmcnt(0)
	s_barrier
	s_and_saveexec_b64 s[0:1], vcc
	s_cbranch_execz .LBB0_15
; %bb.14:
	v_lshlrev_b32_e32 v104, 2, v128
	v_lshlrev_b64 v[28:29], 4, v[104:105]
	v_mov_b32_e32 v128, s9
	v_add_co_u32_e32 v28, vcc, s8, v28
	v_addc_co_u32_e32 v29, vcc, v128, v29, vcc
	v_add_co_u32_e32 v38, vcc, 0x2eb0, v28
	v_addc_co_u32_e32 v39, vcc, 0, v29, vcc
	v_lshlrev_b32_e32 v104, 2, v126
	v_add_co_u32_e32 v40, vcc, 0x2000, v28
	v_lshlrev_b64 v[42:43], 4, v[104:105]
	v_addc_co_u32_e32 v41, vcc, 0, v29, vcc
	v_add_co_u32_e32 v44, vcc, s8, v42
	v_addc_co_u32_e32 v45, vcc, v128, v43, vcc
	v_add_co_u32_e32 v42, vcc, s18, v44
	v_addc_co_u32_e32 v43, vcc, 0, v45, vcc
	global_load_dwordx4 v[28:31], v[38:39], off offset:32
	global_load_dwordx4 v[32:35], v[38:39], off offset:16
	;; [unrolled: 1-line block ×5, first 2 shown]
	s_movk_i32 s0, 0x2eb0
	v_add_co_u32_e32 v106, vcc, s0, v44
	v_addc_co_u32_e32 v107, vcc, 0, v45, vcc
	global_load_dwordx4 v[76:79], v[106:107], off offset:48
	v_sub_u32_e32 v104, 0, v139
	v_add_u32_e32 v104, v135, v104
	v_sub_u32_e32 v126, 0, v95
	v_sub_u32_e32 v140, 0, v116
	;; [unrolled: 1-line block ×3, first 2 shown]
	ds_read2_b64 v[42:45], v93 offset0:77 offset1:202
	ds_read2_b64 v[46:49], v91 offset0:95 offset1:220
	ds_read2_b64 v[38:41], v94 offset0:59 offset1:184
	ds_read2_b64 v[80:83], v90 offset0:83 offset1:208
	ds_read2_b64 v[84:87], v88 offset0:101 offset1:226
	ds_read2_b64 v[88:91], v89 offset0:65 offset1:190
	ds_read2_b64 v[92:95], v92 offset0:47 offset1:172
	ds_read_b64 v[116:117], v136 offset:29000
	ds_read_b64 v[180:181], v136
	ds_read_b64 v[135:136], v104
	global_load_dwordx4 v[142:145], v[106:107], off offset:32
	global_load_dwordx4 v[146:149], v[106:107], off offset:16
	v_lshlrev_b32_e32 v104, 2, v125
	v_lshlrev_b64 v[106:107], 4, v[104:105]
	v_sub_u32_e32 v138, 0, v138
	v_add_co_u32_e32 v104, vcc, s8, v106
	v_addc_co_u32_e32 v125, vcc, v128, v107, vcc
	v_add_co_u32_e32 v106, vcc, s0, v104
	v_addc_co_u32_e32 v107, vcc, 0, v125, vcc
	;; [unrolled: 2-line block ×3, first 2 shown]
	global_load_dwordx4 v[150:153], v[150:151], off offset:3760
	s_nop 0
	global_load_dwordx4 v[154:157], v[106:107], off offset:48
	v_lshlrev_b32_e32 v104, 2, v124
	v_sub_u32_e32 v137, 0, v137
	s_waitcnt vmcnt(9) lgkmcnt(7)
	v_mul_f64 v[160:161], v[28:29], v[38:39]
	s_waitcnt vmcnt(8)
	v_mul_f64 v[158:159], v[32:33], v[42:43]
	v_mul_f64 v[42:43], v[34:35], v[42:43]
	;; [unrolled: 1-line block ×3, first 2 shown]
	s_waitcnt vmcnt(6)
	v_mul_f64 v[164:165], v[66:67], v[46:47]
	s_waitcnt vmcnt(5) lgkmcnt(2)
	v_mul_f64 v[166:167], v[96:97], v[116:117]
	v_mul_f64 v[46:47], v[68:69], v[46:47]
	;; [unrolled: 1-line block ×4, first 2 shown]
	v_fma_f64 v[34:35], v[8:9], v[34:35], v[158:159]
	v_fma_f64 v[8:9], v[8:9], v[32:33], -v[42:43]
	v_fma_f64 v[28:29], v[0:1], v[28:29], -v[38:39]
	v_fma_f64 v[0:1], v[0:1], v[30:31], v[160:161]
	v_fma_f64 v[30:31], v[4:5], v[68:69], v[164:165]
	;; [unrolled: 1-line block ×3, first 2 shown]
	v_fma_f64 v[4:5], v[4:5], v[66:67], -v[46:47]
	v_fma_f64 v[46:47], v[70:71], v[96:97], -v[116:117]
	v_fma_f64 v[98:99], v[52:53], v[74:75], v[162:163]
	s_waitcnt vmcnt(4)
	v_mul_f64 v[42:43], v[76:77], v[94:95]
	v_add_f64 v[38:39], v[8:9], -v[28:29]
	v_add_f64 v[66:67], v[34:35], v[0:1]
	v_add_f64 v[70:71], v[8:9], v[28:29]
	;; [unrolled: 1-line block ×3, first 2 shown]
	v_add_f64 v[96:97], v[34:35], -v[30:31]
	v_add_f64 v[116:117], v[0:1], -v[32:33]
	;; [unrolled: 1-line block ×4, first 2 shown]
	s_waitcnt lgkmcnt(0)
	v_add_f64 v[166:167], v[30:31], v[135:136]
	v_add_f64 v[168:169], v[4:5], v[46:47]
	v_add_f64 v[174:175], v[30:31], -v[32:33]
	v_fma_f64 v[30:31], v[66:67], -0.5, v[135:136]
	v_fma_f64 v[66:67], v[160:161], -0.5, v[135:136]
	v_add_f64 v[68:69], v[34:35], -v[0:1]
	v_add_f64 v[164:165], v[32:33], -v[0:1]
	v_add_f64 v[96:97], v[96:97], v[116:117]
	v_add_f64 v[34:35], v[34:35], v[166:167]
	v_fma_f64 v[160:161], v[168:169], -0.5, v[36:37]
	v_fma_f64 v[168:169], v[70:71], -0.5, v[36:37]
	v_fma_f64 v[70:71], v[158:159], s[4:5], v[30:31]
	v_fma_f64 v[30:31], v[158:159], s[10:11], v[30:31]
	;; [unrolled: 1-line block ×4, first 2 shown]
	v_add_f64 v[162:163], v[162:163], v[164:165]
	v_add_f64 v[0:1], v[0:1], v[34:35]
	v_add_f64 v[170:171], v[8:9], -v[4:5]
	v_add_f64 v[176:177], v[4:5], -v[8:9]
	v_fma_f64 v[34:35], v[38:39], s[6:7], v[70:71]
	v_fma_f64 v[38:39], v[38:39], s[14:15], v[30:31]
	;; [unrolled: 1-line block ×4, first 2 shown]
	v_add_f64 v[4:5], v[36:37], v[4:5]
	v_add_f64 v[70:71], v[32:33], v[0:1]
	v_fma_f64 v[0:1], v[56:57], v[78:79], v[42:43]
	s_waitcnt vmcnt(2)
	v_mul_f64 v[42:43], v[148:149], v[82:83]
	v_fma_f64 v[30:31], v[162:163], s[16:17], v[34:35]
	v_fma_f64 v[66:67], v[162:163], s[16:17], v[38:39]
	v_fma_f64 v[34:35], v[96:97], s[16:17], v[116:117]
	v_fma_f64 v[38:39], v[96:97], s[16:17], v[158:159]
	v_mul_f64 v[96:97], v[144:145], v[90:91]
	v_mul_f64 v[36:37], v[146:147], v[82:83]
	;; [unrolled: 1-line block ×4, first 2 shown]
	v_add_u32_e32 v94, v134, v138
	ds_read_b64 v[116:117], v94
	v_add_f64 v[172:173], v[28:29], -v[46:47]
	v_fma_f64 v[166:167], v[68:69], s[4:5], v[160:161]
	v_fma_f64 v[90:91], v[64:65], v[142:143], -v[96:97]
	v_fma_f64 v[160:161], v[68:69], s[10:11], v[160:161]
	v_fma_f64 v[82:83], v[64:65], v[144:145], v[82:83]
	global_load_dwordx4 v[94:97], v[106:107], off offset:32
	global_load_dwordx4 v[142:145], v[106:107], off offset:16
	v_mul_f64 v[74:75], v[74:75], v[86:87]
	v_add_f64 v[135:136], v[46:47], -v[28:29]
	v_add_f64 v[164:165], v[170:171], v[172:173]
	v_fma_f64 v[170:171], v[174:175], s[10:11], v[168:169]
	v_add_f64 v[86:87], v[98:99], v[0:1]
	v_fma_f64 v[42:43], v[60:61], v[146:147], -v[42:43]
	v_fma_f64 v[60:61], v[60:61], v[148:149], v[36:37]
	v_fma_f64 v[36:37], v[174:175], s[4:5], v[168:169]
	v_add_f64 v[4:5], v[8:9], v[4:5]
	v_fma_f64 v[138:139], v[52:53], v[72:73], -v[74:75]
	v_fma_f64 v[172:173], v[56:57], v[76:77], -v[78:79]
	v_fma_f64 v[76:77], v[174:175], s[6:7], v[160:161]
	s_waitcnt lgkmcnt(0)
	v_fma_f64 v[52:53], v[86:87], -0.5, v[116:117]
	v_add_f64 v[64:65], v[82:83], -v[0:1]
	v_add_f64 v[8:9], v[60:61], -v[98:99]
	v_add_f64 v[78:79], v[176:177], v[135:136]
	v_fma_f64 v[86:87], v[68:69], s[14:15], v[170:171]
	v_fma_f64 v[68:69], v[68:69], s[6:7], v[36:37]
	v_add_f64 v[4:5], v[4:5], v[28:29]
	v_add_f64 v[106:107], v[60:61], v[82:83]
	v_add_f64 v[56:57], v[42:43], -v[90:91]
	v_fma_f64 v[36:37], v[164:165], s[16:17], v[76:77]
	v_add_f64 v[76:77], v[138:139], v[172:173]
	v_add_f64 v[72:73], v[138:139], -v[172:173]
	v_add_f64 v[8:9], v[8:9], v[64:65]
	v_fma_f64 v[64:65], v[78:79], s[16:17], v[68:69]
	v_add_f64 v[68:69], v[4:5], v[46:47]
	v_fma_f64 v[4:5], v[106:107], -0.5, v[116:117]
	v_fma_f64 v[74:75], v[56:57], s[10:11], v[52:53]
	v_fma_f64 v[52:53], v[56:57], s[4:5], v[52:53]
	;; [unrolled: 1-line block ×3, first 2 shown]
	v_add_f64 v[46:47], v[98:99], v[116:117]
	v_fma_f64 v[76:77], v[76:77], -0.5, v[102:103]
	v_add_f64 v[86:87], v[60:61], -v[82:83]
	v_add_f64 v[78:79], v[98:99], -v[60:61]
	;; [unrolled: 1-line block ×3, first 2 shown]
	v_fma_f64 v[116:117], v[72:73], s[4:5], v[4:5]
	v_fma_f64 v[4:5], v[72:73], s[10:11], v[4:5]
	;; [unrolled: 1-line block ×5, first 2 shown]
	v_add_f64 v[46:47], v[60:61], v[46:47]
	v_add_f64 v[60:61], v[42:43], -v[138:139]
	v_add_f64 v[72:73], v[90:91], -v[172:173]
	v_fma_f64 v[134:135], v[86:87], s[4:5], v[76:77]
	v_add_f64 v[98:99], v[98:99], -v[0:1]
	v_add_f64 v[106:107], v[78:79], v[106:107]
	v_add_f64 v[78:79], v[42:43], v[90:91]
	v_fma_f64 v[116:117], v[56:57], s[6:7], v[116:117]
	v_fma_f64 v[4:5], v[56:57], s[14:15], v[4:5]
	;; [unrolled: 1-line block ×4, first 2 shown]
	v_add_f64 v[46:47], v[82:83], v[46:47]
	v_add_f64 v[82:83], v[60:61], v[72:73]
	v_fma_f64 v[72:73], v[98:99], s[14:15], v[134:135]
	v_add_f64 v[134:135], v[138:139], -v[42:43]
	v_add_f64 v[146:147], v[172:173], -v[90:91]
	v_fma_f64 v[166:167], v[78:79], -0.5, v[102:103]
	v_fma_f64 v[74:75], v[8:9], s[16:17], v[74:75]
	v_fma_f64 v[78:79], v[8:9], s[16:17], v[52:53]
	v_add_f64 v[8:9], v[102:103], v[138:139]
	v_lshlrev_b64 v[102:103], 4, v[104:105]
	v_fma_f64 v[52:53], v[106:107], s[16:17], v[116:117]
	v_add_co_u32_e32 v104, vcc, s8, v102
	v_fma_f64 v[56:57], v[106:107], s[16:17], v[4:5]
	v_addc_co_u32_e32 v107, vcc, v128, v103, vcc
	v_add_co_u32_e32 v102, vcc, s0, v104
	v_addc_co_u32_e32 v103, vcc, 0, v107, vcc
	v_add_co_u32_e32 v106, vcc, s18, v104
	v_fma_f64 v[76:77], v[98:99], s[6:7], v[76:77]
	v_add_f64 v[60:61], v[0:1], v[46:47]
	v_add_f64 v[0:1], v[134:135], v[146:147]
	v_fma_f64 v[4:5], v[98:99], s[10:11], v[166:167]
	v_addc_co_u32_e32 v107, vcc, 0, v107, vcc
	global_load_dwordx4 v[146:149], v[102:103], off offset:32
	global_load_dwordx4 v[158:161], v[102:103], off offset:16
	;; [unrolled: 1-line block ×3, first 2 shown]
	v_fma_f64 v[98:99], v[98:99], s[4:5], v[166:167]
	global_load_dwordx4 v[166:169], v[102:103], off offset:48
	v_fma_f64 v[72:73], v[82:83], s[16:17], v[72:73]
	v_fma_f64 v[76:77], v[82:83], s[16:17], v[76:77]
	s_waitcnt vmcnt(7)
	v_mul_f64 v[46:47], v[150:151], v[84:85]
	s_waitcnt vmcnt(6)
	v_mul_f64 v[82:83], v[154:155], v[92:93]
	;; [unrolled: 2-line block ×3, first 2 shown]
	v_add_f64 v[8:9], v[42:43], v[8:9]
	s_waitcnt vmcnt(4)
	v_mul_f64 v[42:43], v[142:143], v[80:81]
	v_mul_f64 v[84:85], v[152:153], v[84:85]
	v_fma_f64 v[4:5], v[86:87], s[14:15], v[4:5]
	v_lshlrev_b32_e32 v104, 2, v123
	v_fma_f64 v[46:47], v[50:51], v[152:153], v[46:47]
	v_fma_f64 v[102:103], v[54:55], v[156:157], v[82:83]
	v_mul_f64 v[82:83], v[144:145], v[80:81]
	v_mul_f64 v[80:81], v[94:95], v[88:89]
	;; [unrolled: 1-line block ×3, first 2 shown]
	v_fma_f64 v[106:107], v[62:63], v[94:95], -v[106:107]
	v_fma_f64 v[42:43], v[58:59], v[144:145], v[42:43]
	v_add_f64 v[8:9], v[8:9], v[90:91]
	v_add_f64 v[92:93], v[46:47], v[102:103]
	v_fma_f64 v[116:117], v[58:59], v[142:143], -v[82:83]
	v_fma_f64 v[62:63], v[62:63], v[96:97], v[80:81]
	v_add_u32_e32 v82, v129, v137
	ds_read_b64 v[82:83], v82
	v_fma_f64 v[80:81], v[50:51], v[150:151], -v[84:85]
	v_fma_f64 v[96:97], v[54:55], v[154:155], -v[88:89]
	v_fma_f64 v[58:59], v[86:87], s[6:7], v[98:99]
	v_add_f64 v[86:87], v[42:43], -v[46:47]
	s_waitcnt lgkmcnt(0)
	v_fma_f64 v[54:55], v[92:93], -0.5, v[82:83]
	v_add_f64 v[84:85], v[116:117], -v[106:107]
	v_add_f64 v[92:93], v[42:43], v[62:63]
	v_add_f64 v[88:89], v[62:63], -v[102:103]
	v_fma_f64 v[50:51], v[0:1], s[16:17], v[4:5]
	v_add_f64 v[90:91], v[80:81], -v[96:97]
	v_add_f64 v[98:99], v[80:81], v[96:97]
	v_fma_f64 v[94:95], v[84:85], s[10:11], v[54:55]
	v_fma_f64 v[4:5], v[84:85], s[4:5], v[54:55]
	;; [unrolled: 1-line block ×3, first 2 shown]
	v_add_f64 v[58:59], v[8:9], v[172:173]
	v_fma_f64 v[8:9], v[92:93], -0.5, v[82:83]
	v_add_f64 v[82:83], v[46:47], v[82:83]
	v_add_f64 v[0:1], v[86:87], v[88:89]
	v_fma_f64 v[88:89], v[98:99], -0.5, v[100:101]
	v_fma_f64 v[86:87], v[90:91], s[6:7], v[94:95]
	v_add_f64 v[92:93], v[42:43], -v[62:63]
	v_add_f64 v[94:95], v[46:47], -v[42:43]
	;; [unrolled: 1-line block ×3, first 2 shown]
	v_fma_f64 v[124:125], v[90:91], s[4:5], v[8:9]
	v_fma_f64 v[8:9], v[90:91], s[10:11], v[8:9]
	v_add_f64 v[42:43], v[42:43], v[82:83]
	v_fma_f64 v[4:5], v[90:91], s[14:15], v[4:5]
	v_add_f64 v[82:83], v[116:117], -v[80:81]
	v_add_f64 v[90:91], v[106:107], -v[96:97]
	v_fma_f64 v[134:135], v[92:93], s[4:5], v[88:89]
	v_add_f64 v[46:47], v[46:47], -v[102:103]
	v_add_f64 v[94:95], v[94:95], v[98:99]
	v_fma_f64 v[98:99], v[84:85], s[6:7], v[124:125]
	v_fma_f64 v[8:9], v[84:85], s[14:15], v[8:9]
	;; [unrolled: 1-line block ×3, first 2 shown]
	v_add_f64 v[84:85], v[116:117], v[106:107]
	v_add_f64 v[42:43], v[62:63], v[42:43]
	;; [unrolled: 1-line block ×3, first 2 shown]
	v_fma_f64 v[124:125], v[46:47], s[14:15], v[134:135]
	ds_read2_b64 v[134:137], v131 offset0:89 offset1:214
	ds_read2_b64 v[142:145], v130 offset0:107 offset1:232
	;; [unrolled: 1-line block ×4, first 2 shown]
	v_fma_f64 v[82:83], v[94:95], s[16:17], v[98:99]
	v_fma_f64 v[94:95], v[94:95], s[16:17], v[8:9]
	v_add_f64 v[8:9], v[100:101], v[80:81]
	v_fma_f64 v[88:89], v[46:47], s[6:7], v[88:89]
	v_fma_f64 v[86:87], v[0:1], s[16:17], v[86:87]
	;; [unrolled: 1-line block ×3, first 2 shown]
	v_fma_f64 v[0:1], v[84:85], -0.5, v[100:101]
	v_add_f64 v[98:99], v[102:103], v[42:43]
	v_fma_f64 v[84:85], v[62:63], s[16:17], v[124:125]
	v_add_f64 v[4:5], v[80:81], -v[116:117]
	v_add_f64 v[8:9], v[116:117], v[8:9]
	v_fma_f64 v[88:89], v[62:63], s[16:17], v[88:89]
	v_add_f64 v[42:43], v[96:97], -v[106:107]
	s_waitcnt vmcnt(0) lgkmcnt(0)
	v_mul_f64 v[102:103], v[166:167], v[152:153]
	v_fma_f64 v[62:63], v[46:47], s[10:11], v[0:1]
	v_mul_f64 v[80:81], v[162:163], v[144:145]
	v_fma_f64 v[0:1], v[46:47], s[4:5], v[0:1]
	v_mul_f64 v[46:47], v[158:159], v[136:137]
	v_add_f64 v[8:9], v[8:9], v[106:107]
	v_mul_f64 v[123:124], v[168:169], v[152:153]
	v_add_f64 v[4:5], v[4:5], v[42:43]
	v_fma_f64 v[116:117], v[18:19], v[168:169], v[102:103]
	v_lshlrev_b64 v[102:103], 4, v[104:105]
	v_fma_f64 v[42:43], v[92:93], s[14:15], v[62:63]
	v_add_co_u32_e32 v104, vcc, s8, v102
	v_addc_co_u32_e32 v106, vcc, v128, v103, vcc
	v_add_co_u32_e32 v102, vcc, s18, v104
	v_addc_co_u32_e32 v103, vcc, 0, v106, vcc
	v_fma_f64 v[62:63], v[14:15], v[164:165], v[80:81]
	v_mul_f64 v[80:81], v[160:161], v[136:137]
	global_load_dwordx4 v[136:139], v[102:103], off offset:3760
	v_add_co_u32_e32 v102, vcc, s0, v104
	v_addc_co_u32_e32 v103, vcc, 0, v106, vcc
	global_load_dwordx4 v[154:157], v[102:103], off offset:48
	global_load_dwordx4 v[168:171], v[102:103], off offset:32
	;; [unrolled: 1-line block ×3, first 2 shown]
	v_mul_f64 v[100:101], v[146:147], v[131:132]
	v_fma_f64 v[46:47], v[22:23], v[160:161], v[46:47]
	v_mul_f64 v[106:107], v[164:165], v[144:145]
	v_fma_f64 v[0:1], v[92:93], s[6:7], v[0:1]
	v_mul_f64 v[92:93], v[148:149], v[131:132]
	v_add_f64 v[102:103], v[62:63], v[116:117]
	v_fma_f64 v[123:124], v[18:19], v[166:167], -v[123:124]
	v_add_u32_e32 v104, v127, v141
	v_fma_f64 v[100:101], v[26:27], v[148:149], v[100:101]
	v_fma_f64 v[131:132], v[22:23], v[158:159], -v[80:81]
	v_fma_f64 v[148:149], v[14:15], v[162:163], -v[106:107]
	v_add_f64 v[14:15], v[46:47], -v[62:63]
	ds_read_b64 v[22:23], v104
	v_fma_f64 v[26:27], v[26:27], v[146:147], -v[92:93]
	v_fma_f64 v[80:81], v[4:5], s[16:17], v[42:43]
	v_fma_f64 v[92:93], v[4:5], s[16:17], v[0:1]
	v_add_f64 v[18:19], v[100:101], -v[116:117]
	v_add_f64 v[106:107], v[46:47], v[100:101]
	s_waitcnt lgkmcnt(0)
	v_fma_f64 v[102:103], v[102:103], -0.5, v[22:23]
	v_add_f64 v[96:97], v[8:9], v[96:97]
	v_add_f64 v[8:9], v[148:149], -v[123:124]
	v_add_f64 v[144:145], v[131:132], -v[26:27]
	v_add_f64 v[0:1], v[148:149], v[123:124]
	v_add_f64 v[152:153], v[46:47], -v[100:101]
	v_add_f64 v[4:5], v[14:15], v[18:19]
	v_fma_f64 v[14:15], v[106:107], -0.5, v[22:23]
	v_add_f64 v[22:23], v[62:63], v[22:23]
	v_add_f64 v[106:107], v[116:117], -v[100:101]
	v_lshlrev_b32_e32 v104, 2, v122
	v_fma_f64 v[18:19], v[144:145], s[10:11], v[102:103]
	v_fma_f64 v[42:43], v[144:145], s[4:5], v[102:103]
	v_add_f64 v[102:103], v[62:63], -v[46:47]
	v_fma_f64 v[0:1], v[0:1], -0.5, v[114:115]
	v_fma_f64 v[146:147], v[8:9], s[4:5], v[14:15]
	v_add_f64 v[22:23], v[46:47], v[22:23]
	v_fma_f64 v[14:15], v[8:9], s[10:11], v[14:15]
	v_add_f64 v[46:47], v[131:132], -v[148:149]
	v_fma_f64 v[18:19], v[8:9], s[6:7], v[18:19]
	v_fma_f64 v[8:9], v[8:9], s[14:15], v[42:43]
	v_add_f64 v[42:43], v[102:103], v[106:107]
	v_add_f64 v[158:159], v[26:27], -v[123:124]
	v_fma_f64 v[146:147], v[144:145], s[6:7], v[146:147]
	v_add_f64 v[22:23], v[100:101], v[22:23]
	v_fma_f64 v[144:145], v[144:145], s[14:15], v[14:15]
	v_fma_f64 v[160:161], v[152:153], s[4:5], v[0:1]
	v_add_f64 v[62:63], v[62:63], -v[116:117]
	v_lshlrev_b64 v[104:105], 4, v[104:105]
	v_fma_f64 v[102:103], v[4:5], s[16:17], v[18:19]
	v_add_f64 v[46:47], v[46:47], v[158:159]
	v_fma_f64 v[14:15], v[42:43], s[16:17], v[146:147]
	v_add_f64 v[22:23], v[116:117], v[22:23]
	v_add_co_u32_e32 v116, vcc, s8, v104
	v_addc_co_u32_e32 v117, vcc, v128, v105, vcc
	v_add_co_u32_e32 v104, vcc, s18, v116
	v_addc_co_u32_e32 v105, vcc, 0, v117, vcc
	v_fma_f64 v[18:19], v[42:43], s[16:17], v[144:145]
	global_load_dwordx4 v[144:147], v[104:105], off offset:3760
	v_add_co_u32_e32 v104, vcc, s0, v116
	v_addc_co_u32_e32 v105, vcc, 0, v117, vcc
	v_fma_f64 v[100:101], v[62:63], s[14:15], v[160:161]
	v_fma_f64 v[106:107], v[4:5], s[16:17], v[8:9]
	v_add_f64 v[4:5], v[131:132], v[26:27]
	global_load_dwordx4 v[158:161], v[104:105], off offset:48
	v_fma_f64 v[0:1], v[152:153], s[10:11], v[0:1]
	global_load_dwordx4 v[162:165], v[104:105], off offset:32
	global_load_dwordx4 v[176:179], v[104:105], off offset:16
	v_add_f64 v[8:9], v[148:149], -v[131:132]
	v_add_f64 v[42:43], v[123:124], -v[26:27]
	v_fma_f64 v[100:101], v[46:47], s[16:17], v[100:101]
	v_fma_f64 v[4:5], v[4:5], -0.5, v[114:115]
	v_fma_f64 v[0:1], v[62:63], s[6:7], v[0:1]
	s_waitcnt vmcnt(4)
	v_mul_f64 v[127:128], v[174:175], v[134:135]
	v_add_f64 v[8:9], v[8:9], v[42:43]
	v_fma_f64 v[116:117], v[62:63], s[10:11], v[4:5]
	v_fma_f64 v[4:5], v[62:63], s[4:5], v[4:5]
	v_mul_f64 v[62:63], v[136:137], v[142:143]
	v_fma_f64 v[104:105], v[46:47], s[16:17], v[0:1]
	v_mul_f64 v[0:1], v[154:155], v[150:151]
	v_add_f64 v[46:47], v[114:115], v[148:149]
	v_mul_f64 v[114:115], v[172:173], v[134:135]
	v_mul_f64 v[133:134], v[156:157], v[150:151]
	v_fma_f64 v[42:43], v[152:153], s[14:15], v[116:117]
	v_mul_f64 v[116:117], v[168:169], v[129:130]
	v_fma_f64 v[62:63], v[12:13], v[138:139], v[62:63]
	;; [unrolled: 2-line block ×3, first 2 shown]
	v_add_f64 v[46:47], v[131:132], v[46:47]
	v_fma_f64 v[114:115], v[20:21], v[174:175], v[114:115]
	v_mul_f64 v[131:132], v[138:139], v[142:143]
	v_fma_f64 v[127:128], v[20:21], v[172:173], -v[127:128]
	v_fma_f64 v[116:117], v[24:25], v[170:171], v[116:117]
	v_add_u32_e32 v20, v119, v140
	v_fma_f64 v[4:5], v[152:153], s[6:7], v[4:5]
	v_add_f64 v[138:139], v[62:63], v[0:1]
	v_fma_f64 v[129:130], v[24:25], v[168:169], -v[129:130]
	ds_read_b64 v[24:25], v20
	v_fma_f64 v[131:132], v[12:13], v[136:137], -v[131:132]
	v_fma_f64 v[133:134], v[16:17], v[154:155], -v[133:134]
	v_add_f64 v[20:21], v[114:115], v[116:117]
	v_add_f64 v[26:27], v[46:47], v[26:27]
	v_fma_f64 v[12:13], v[8:9], s[16:17], v[42:43]
	s_waitcnt lgkmcnt(0)
	v_fma_f64 v[46:47], v[138:139], -0.5, v[24:25]
	v_fma_f64 v[16:17], v[8:9], s[16:17], v[4:5]
	v_add_f64 v[4:5], v[114:115], -v[62:63]
	v_add_f64 v[137:138], v[116:117], -v[0:1]
	v_add_f64 v[8:9], v[131:132], -v[133:134]
	v_fma_f64 v[42:43], v[20:21], -0.5, v[24:25]
	v_add_f64 v[20:21], v[26:27], v[123:124]
	v_add_f64 v[123:124], v[131:132], v[133:134]
	v_add_f64 v[135:136], v[127:128], -v[129:130]
	v_add_f64 v[139:140], v[62:63], -v[114:115]
	;; [unrolled: 1-line block ×3, first 2 shown]
	v_add_f64 v[4:5], v[4:5], v[137:138]
	v_add_f64 v[24:25], v[62:63], v[24:25]
	v_fma_f64 v[148:149], v[8:9], s[4:5], v[42:43]
	v_add_f64 v[137:138], v[114:115], -v[116:117]
	v_fma_f64 v[123:124], v[123:124], -0.5, v[112:113]
	v_fma_f64 v[26:27], v[135:136], s[10:11], v[46:47]
	v_fma_f64 v[46:47], v[135:136], s[4:5], v[46:47]
	v_add_f64 v[139:140], v[139:140], v[141:142]
	v_fma_f64 v[42:43], v[8:9], s[10:11], v[42:43]
	v_add_f64 v[24:25], v[114:115], v[24:25]
	v_fma_f64 v[141:142], v[135:136], s[6:7], v[148:149]
	v_add_f64 v[114:115], v[127:128], -v[131:132]
	v_add_f64 v[148:149], v[129:130], -v[133:134]
	v_fma_f64 v[152:153], v[137:138], s[4:5], v[123:124]
	v_add_f64 v[62:63], v[62:63], -v[0:1]
	v_fma_f64 v[26:27], v[8:9], s[6:7], v[26:27]
	v_fma_f64 v[46:47], v[8:9], s[14:15], v[46:47]
	v_add_f64 v[150:151], v[127:128], v[129:130]
	v_fma_f64 v[42:43], v[135:136], s[14:15], v[42:43]
	v_add_f64 v[24:25], v[116:117], v[24:25]
	v_add_f64 v[114:115], v[114:115], v[148:149]
	v_fma_f64 v[8:9], v[139:140], s[16:17], v[141:142]
	v_fma_f64 v[135:136], v[62:63], s[14:15], v[152:153]
	;; [unrolled: 1-line block ×4, first 2 shown]
	v_add_u32_e32 v46, v118, v126
	ds_read_b64 v[118:119], v46
	v_fma_f64 v[116:117], v[150:151], -0.5, v[112:113]
	v_fma_f64 v[123:124], v[137:138], s[10:11], v[123:124]
	v_add_f64 v[141:142], v[131:132], -v[127:128]
	v_add_f64 v[125:126], v[133:134], -v[129:130]
	v_add_f64 v[46:47], v[0:1], v[24:25]
	s_waitcnt vmcnt(3) lgkmcnt(0)
	v_mul_f64 v[0:1], v[144:145], v[118:119]
	v_fma_f64 v[24:25], v[114:115], s[16:17], v[135:136]
	s_waitcnt vmcnt(2)
	v_mul_f64 v[135:136], v[158:159], v[40:41]
	v_fma_f64 v[148:149], v[62:63], s[10:11], v[116:117]
	v_fma_f64 v[123:124], v[62:63], s[6:7], v[123:124]
	;; [unrolled: 1-line block ×3, first 2 shown]
	v_add_f64 v[125:126], v[141:142], v[125:126]
	s_waitcnt vmcnt(0)
	v_mul_f64 v[141:142], v[176:177], v[48:49]
	v_fma_f64 v[0:1], v[110:111], v[146:147], v[0:1]
	v_mul_f64 v[116:117], v[162:163], v[44:45]
	v_fma_f64 v[135:136], v[2:3], v[160:161], v[135:136]
	v_mul_f64 v[48:49], v[178:179], v[48:49]
	v_mul_f64 v[44:45], v[164:165], v[44:45]
	v_add_f64 v[112:113], v[112:113], v[131:132]
	v_mul_f64 v[118:119], v[146:147], v[118:119]
	v_fma_f64 v[131:132], v[6:7], v[178:179], v[141:142]
	v_mul_f64 v[40:41], v[160:161], v[40:41]
	v_fma_f64 v[116:117], v[10:11], v[164:165], v[116:117]
	v_add_f64 v[141:142], v[0:1], v[135:136]
	v_fma_f64 v[48:49], v[6:7], v[176:177], -v[48:49]
	v_fma_f64 v[10:11], v[10:11], v[162:163], -v[44:45]
	v_fma_f64 v[42:43], v[139:140], s[16:17], v[42:43]
	v_fma_f64 v[139:140], v[137:138], s[14:15], v[148:149]
	;; [unrolled: 1-line block ×3, first 2 shown]
	v_add_f64 v[62:63], v[127:128], v[112:113]
	v_fma_f64 v[112:113], v[110:111], v[144:145], -v[118:119]
	v_fma_f64 v[127:128], v[2:3], v[158:159], -v[40:41]
	v_add_f64 v[40:41], v[131:132], v[116:117]
	v_fma_f64 v[118:119], v[141:142], -0.5, v[180:181]
	v_add_f64 v[137:138], v[48:49], -v[10:11]
	v_add_f64 v[110:111], v[131:132], -v[0:1]
	;; [unrolled: 1-line block ×3, first 2 shown]
	v_fma_f64 v[2:3], v[114:115], s[16:17], v[123:124]
	v_fma_f64 v[6:7], v[125:126], s[16:17], v[139:140]
	v_add_f64 v[114:115], v[112:113], -v[127:128]
	v_fma_f64 v[123:124], v[40:41], -0.5, v[180:181]
	v_fma_f64 v[40:41], v[125:126], s[16:17], v[44:45]
	v_add_f64 v[44:45], v[62:63], v[129:130]
	v_fma_f64 v[62:63], v[137:138], s[10:11], v[118:119]
	v_add_f64 v[125:126], v[110:111], v[141:142]
	v_fma_f64 v[110:111], v[137:138], s[4:5], v[118:119]
	v_add_f64 v[118:119], v[0:1], -v[131:132]
	v_add_f64 v[129:130], v[135:136], -v[116:117]
	v_fma_f64 v[139:140], v[114:115], s[4:5], v[123:124]
	v_fma_f64 v[123:124], v[114:115], s[10:11], v[123:124]
	v_add_f64 v[141:142], v[0:1], v[180:181]
	v_fma_f64 v[62:63], v[114:115], s[6:7], v[62:63]
	v_add_f64 v[44:45], v[44:45], v[133:134]
	;; [unrolled: 2-line block ×3, first 2 shown]
	v_add_f64 v[129:130], v[118:119], v[129:130]
	v_fma_f64 v[118:119], v[137:138], s[6:7], v[139:140]
	v_fma_f64 v[123:124], v[137:138], s[14:15], v[123:124]
	v_add_f64 v[137:138], v[131:132], v[141:142]
	v_fma_f64 v[110:111], v[125:126], s[16:17], v[62:63]
	v_add_f64 v[62:63], v[48:49], v[10:11]
	v_add_f64 v[131:132], v[131:132], -v[116:117]
	v_fma_f64 v[133:134], v[133:134], -0.5, v[108:109]
	v_add_f64 v[0:1], v[0:1], -v[135:136]
	v_fma_f64 v[114:115], v[125:126], s[16:17], v[114:115]
	v_fma_f64 v[125:126], v[129:130], s[16:17], v[123:124]
	v_add_f64 v[116:117], v[116:117], v[137:138]
	v_add_f64 v[123:124], v[48:49], -v[112:113]
	v_fma_f64 v[62:63], v[62:63], -0.5, v[108:109]
	v_add_f64 v[108:109], v[108:109], v[112:113]
	v_add_f64 v[137:138], v[10:11], -v[127:128]
	v_fma_f64 v[139:140], v[131:132], s[4:5], v[133:134]
	v_fma_f64 v[133:134], v[131:132], s[10:11], v[133:134]
	v_add_f64 v[112:113], v[112:113], -v[48:49]
	v_add_f64 v[141:142], v[127:128], -v[10:11]
	v_fma_f64 v[118:119], v[129:130], s[16:17], v[118:119]
	v_fma_f64 v[143:144], v[0:1], s[10:11], v[62:63]
	;; [unrolled: 1-line block ×3, first 2 shown]
	v_add_f64 v[48:49], v[48:49], v[108:109]
	v_add_f64 v[129:130], v[135:136], v[116:117]
	v_add_f64 v[116:117], v[123:124], v[137:138]
	v_fma_f64 v[108:109], v[0:1], s[14:15], v[139:140]
	v_fma_f64 v[0:1], v[0:1], s[6:7], v[133:134]
	v_add_f64 v[123:124], v[112:113], v[141:142]
	v_fma_f64 v[133:134], v[131:132], s[14:15], v[143:144]
	v_fma_f64 v[62:63], v[131:132], s[6:7], v[62:63]
	v_add_f64 v[10:11], v[48:49], v[10:11]
	v_mad_u64_u32 v[131:132], s[0:1], s2, v122, 0
	v_fma_f64 v[108:109], v[116:117], s[16:17], v[108:109]
	v_fma_f64 v[112:113], v[116:117], s[16:17], v[0:1]
	v_mov_b32_e32 v0, v132
	v_fma_f64 v[116:117], v[123:124], s[16:17], v[133:134]
	v_fma_f64 v[123:124], v[123:124], s[16:17], v[62:63]
	v_add_u32_e32 v62, 0x2ee, v122
	v_mad_u64_u32 v[48:49], s[0:1], s2, v62, 0
	v_mad_u64_u32 v[0:1], s[0:1], s3, v122, v[0:1]
	v_add_f64 v[127:128], v[10:11], v[127:128]
	v_mad_u64_u32 v[62:63], s[0:1], s3, v62, v[49:50]
	v_mov_b32_e32 v132, v0
	v_mov_b32_e32 v1, s13
	v_add_co_u32_e32 v0, vcc, s12, v120
	v_add_u32_e32 v63, 0x5dc, v122
	v_addc_co_u32_e32 v1, vcc, v1, v121, vcc
	v_lshlrev_b64 v[10:11], 4, v[131:132]
	v_mad_u64_u32 v[120:121], s[0:1], s2, v63, 0
	v_add_co_u32_e32 v10, vcc, v0, v10
	v_addc_co_u32_e32 v11, vcc, v1, v11, vcc
	v_mov_b32_e32 v49, v62
	global_store_dwordx4 v[10:11], v[127:130], off
	v_lshlrev_b64 v[10:11], 4, v[48:49]
	v_mov_b32_e32 v48, v121
	v_mad_u64_u32 v[48:49], s[0:1], s3, v63, v[48:49]
	v_add_u32_e32 v62, 0x8ca, v122
	v_add_co_u32_e32 v10, vcc, v0, v10
	v_mov_b32_e32 v121, v48
	v_mad_u64_u32 v[48:49], s[0:1], s2, v62, 0
	v_addc_co_u32_e32 v11, vcc, v1, v11, vcc
	v_mad_u64_u32 v[62:63], s[0:1], s3, v62, v[49:50]
	v_add_u32_e32 v63, 0xbb8, v122
	global_store_dwordx4 v[10:11], v[123:126], off
	v_lshlrev_b64 v[10:11], 4, v[120:121]
	v_mad_u64_u32 v[120:121], s[0:1], s2, v63, 0
	v_add_co_u32_e32 v10, vcc, v0, v10
	v_addc_co_u32_e32 v11, vcc, v1, v11, vcc
	v_mov_b32_e32 v49, v62
	global_store_dwordx4 v[10:11], v[112:115], off
	v_lshlrev_b64 v[10:11], 4, v[48:49]
	v_mov_b32_e32 v48, v121
	v_mad_u64_u32 v[48:49], s[0:1], s3, v63, v[48:49]
	v_add_u32_e32 v62, 0x7d, v122
	v_add_co_u32_e32 v10, vcc, v0, v10
	v_mov_b32_e32 v121, v48
	v_mad_u64_u32 v[48:49], s[4:5], s2, v62, 0
	v_addc_co_u32_e32 v11, vcc, v1, v11, vcc
	v_mad_u64_u32 v[62:63], s[4:5], s3, v62, v[49:50]
	global_store_dwordx4 v[10:11], v[108:111], off
	v_lshlrev_b64 v[10:11], 4, v[120:121]
	v_add_u32_e32 v63, 0x36b, v122
	v_add_co_u32_e32 v10, vcc, v0, v10
	v_addc_co_u32_e32 v11, vcc, v1, v11, vcc
	v_mad_u64_u32 v[108:109], s[4:5], s2, v63, 0
	v_mov_b32_e32 v49, v62
	global_store_dwordx4 v[10:11], v[116:119], off
	v_lshlrev_b64 v[10:11], 4, v[48:49]
	v_mov_b32_e32 v48, v109
	v_add_co_u32_e32 v10, vcc, v0, v10
	v_addc_co_u32_e32 v11, vcc, v1, v11, vcc
	v_mad_u64_u32 v[48:49], s[4:5], s3, v63, v[48:49]
	global_store_dwordx4 v[10:11], v[44:47], off
	s_mov_b32 s1, 0x57619f1
	v_add_u32_e32 v46, 0x659, v122
	v_mad_u64_u32 v[44:45], s[4:5], s2, v46, 0
	v_mov_b32_e32 v109, v48
	v_lshlrev_b64 v[10:11], 4, v[108:109]
	v_mad_u64_u32 v[45:46], s[4:5], s3, v46, v[45:46]
	v_add_co_u32_e32 v10, vcc, v0, v10
	v_addc_co_u32_e32 v11, vcc, v1, v11, vcc
	v_add_u32_e32 v48, 0x947, v122
	global_store_dwordx4 v[10:11], v[40:43], off
	v_lshlrev_b64 v[10:11], 4, v[44:45]
	v_mad_u64_u32 v[46:47], s[4:5], s2, v48, 0
	v_add_co_u32_e32 v10, vcc, v0, v10
	v_addc_co_u32_e32 v11, vcc, v1, v11, vcc
	global_store_dwordx4 v[10:11], v[2:5], off
	v_add_u32_e32 v10, 0xc35, v122
	v_mov_b32_e32 v40, v47
	v_mad_u64_u32 v[4:5], s[4:5], s2, v10, 0
	v_mad_u64_u32 v[40:41], s[4:5], s3, v48, v[40:41]
	v_mad_u64_u32 v[10:11], s[4:5], s3, v10, v[5:6]
	v_mov_b32_e32 v47, v40
	v_add_u32_e32 v11, 0xfa, v122
	v_lshlrev_b64 v[2:3], 4, v[46:47]
	v_mad_u64_u32 v[40:41], s[4:5], s2, v11, 0
	v_add_co_u32_e32 v2, vcc, v0, v2
	v_addc_co_u32_e32 v3, vcc, v1, v3, vcc
	v_mov_b32_e32 v5, v10
	global_store_dwordx4 v[2:3], v[24:27], off
	v_lshlrev_b64 v[2:3], 4, v[4:5]
	v_mov_b32_e32 v4, v41
	v_mad_u64_u32 v[4:5], s[4:5], s3, v11, v[4:5]
	v_add_co_u32_e32 v2, vcc, v0, v2
	v_addc_co_u32_e32 v3, vcc, v1, v3, vcc
	global_store_dwordx4 v[2:3], v[6:9], off
	v_mov_b32_e32 v41, v4
	v_add_u32_e32 v6, 0x3e8, v122
	v_mad_u64_u32 v[4:5], s[4:5], s2, v6, 0
	v_add_u32_e32 v8, 0x6d6, v122
	v_lshlrev_b64 v[2:3], 4, v[40:41]
	v_mad_u64_u32 v[5:6], s[4:5], s3, v6, v[5:6]
	v_mad_u64_u32 v[6:7], s[4:5], s2, v8, 0
	v_add_co_u32_e32 v2, vcc, v0, v2
	v_addc_co_u32_e32 v3, vcc, v1, v3, vcc
	global_store_dwordx4 v[2:3], v[20:23], off
	v_lshlrev_b64 v[2:3], 4, v[4:5]
	v_mov_b32_e32 v4, v7
	v_mad_u64_u32 v[4:5], s[4:5], s3, v8, v[4:5]
	v_add_co_u32_e32 v2, vcc, v0, v2
	v_addc_co_u32_e32 v3, vcc, v1, v3, vcc
	v_mov_b32_e32 v7, v4
	global_store_dwordx4 v[2:3], v[16:19], off
	v_lshlrev_b64 v[2:3], 4, v[6:7]
	v_add_u32_e32 v6, 0x9c4, v122
	v_mad_u64_u32 v[4:5], s[4:5], s2, v6, 0
	v_add_u32_e32 v8, 0xcb2, v122
	v_add_co_u32_e32 v2, vcc, v0, v2
	v_mad_u64_u32 v[5:6], s[4:5], s3, v6, v[5:6]
	v_mad_u64_u32 v[6:7], s[4:5], s2, v8, 0
	v_addc_co_u32_e32 v3, vcc, v1, v3, vcc
	global_store_dwordx4 v[2:3], v[104:107], off
	v_lshlrev_b64 v[2:3], 4, v[4:5]
	v_mov_b32_e32 v4, v7
	v_mad_u64_u32 v[4:5], s[4:5], s3, v8, v[4:5]
	v_add_co_u32_e32 v2, vcc, v0, v2
	v_addc_co_u32_e32 v3, vcc, v1, v3, vcc
	v_mov_b32_e32 v7, v4
	global_store_dwordx4 v[2:3], v[100:103], off
	v_lshlrev_b64 v[2:3], 4, v[6:7]
	v_add_u32_e32 v6, 0x177, v122
	v_mad_u64_u32 v[4:5], s[4:5], s2, v6, 0
	v_add_u32_e32 v8, 0x465, v122
	v_add_co_u32_e32 v2, vcc, v0, v2
	v_mad_u64_u32 v[5:6], s[4:5], s3, v6, v[5:6]
	v_mad_u64_u32 v[6:7], s[4:5], s2, v8, 0
	;; [unrolled: 16-line block ×3, first 2 shown]
	v_addc_co_u32_e32 v3, vcc, v1, v3, vcc
	global_store_dwordx4 v[2:3], v[92:95], off
	v_lshlrev_b64 v[2:3], 4, v[4:5]
	v_mov_b32_e32 v4, v7
	v_mad_u64_u32 v[4:5], s[4:5], s3, v8, v[4:5]
	v_add_co_u32_e32 v2, vcc, v0, v2
	v_addc_co_u32_e32 v3, vcc, v1, v3, vcc
	v_mov_b32_e32 v7, v4
	global_store_dwordx4 v[2:3], v[88:91], off
	v_lshlrev_b64 v[2:3], 4, v[6:7]
	v_add_u32_e32 v6, 0xd2f, v122
	v_mad_u64_u32 v[4:5], s[4:5], s2, v6, 0
	v_add_co_u32_e32 v2, vcc, v0, v2
	v_mad_u64_u32 v[5:6], s[4:5], s3, v6, v[5:6]
	v_add_u32_e32 v6, 0x1f4, v122
	v_mul_hi_u32 v7, v6, s1
	v_addc_co_u32_e32 v3, vcc, v1, v3, vcc
	s_movk_i32 s0, 0xbb8
	global_store_dwordx4 v[2:3], v[84:87], off
	v_lshlrev_b64 v[2:3], 4, v[4:5]
	v_lshrrev_b32_e32 v4, 4, v7
	v_mad_u32_u24 v8, v4, s0, v6
	v_mad_u64_u32 v[4:5], s[4:5], s2, v8, 0
	v_add_u32_e32 v9, 0x2ee, v8
	v_add_co_u32_e32 v2, vcc, v0, v2
	v_mad_u64_u32 v[5:6], s[4:5], s3, v8, v[5:6]
	v_mad_u64_u32 v[6:7], s[4:5], s2, v9, 0
	v_addc_co_u32_e32 v3, vcc, v1, v3, vcc
	global_store_dwordx4 v[2:3], v[80:83], off
	v_lshlrev_b64 v[2:3], 4, v[4:5]
	v_mov_b32_e32 v4, v7
	v_mad_u64_u32 v[4:5], s[4:5], s3, v9, v[4:5]
	v_add_co_u32_e32 v2, vcc, v0, v2
	v_addc_co_u32_e32 v3, vcc, v1, v3, vcc
	v_mov_b32_e32 v7, v4
	global_store_dwordx4 v[2:3], v[58:61], off
	v_lshlrev_b64 v[2:3], 4, v[6:7]
	v_add_u32_e32 v6, 0x5dc, v8
	v_mad_u64_u32 v[4:5], s[4:5], s2, v6, 0
	v_add_u32_e32 v9, 0x8ca, v8
	v_add_co_u32_e32 v2, vcc, v0, v2
	v_mad_u64_u32 v[5:6], s[4:5], s3, v6, v[5:6]
	v_mad_u64_u32 v[6:7], s[4:5], s2, v9, 0
	v_addc_co_u32_e32 v3, vcc, v1, v3, vcc
	global_store_dwordx4 v[2:3], v[54:57], off
	v_lshlrev_b64 v[2:3], 4, v[4:5]
	v_mov_b32_e32 v4, v7
	v_mad_u64_u32 v[4:5], s[4:5], s3, v9, v[4:5]
	v_add_co_u32_e32 v2, vcc, v0, v2
	v_addc_co_u32_e32 v3, vcc, v1, v3, vcc
	v_mov_b32_e32 v7, v4
	global_store_dwordx4 v[2:3], v[76:79], off
	v_lshlrev_b64 v[2:3], 4, v[6:7]
	v_add_u32_e32 v6, 0xbb8, v8
	v_mad_u64_u32 v[4:5], s[4:5], s2, v6, 0
	v_add_u32_e32 v7, 0x271, v122
	v_mul_hi_u32 v8, v7, s1
	v_mad_u64_u32 v[5:6], s[4:5], s3, v6, v[5:6]
	v_add_co_u32_e32 v2, vcc, v0, v2
	v_lshrrev_b32_e32 v6, 4, v8
	v_mad_u32_u24 v8, v6, s0, v7
	v_mad_u64_u32 v[6:7], s[0:1], s2, v8, 0
	v_addc_co_u32_e32 v3, vcc, v1, v3, vcc
	global_store_dwordx4 v[2:3], v[72:75], off
	v_lshlrev_b64 v[2:3], 4, v[4:5]
	v_mov_b32_e32 v4, v7
	v_mad_u64_u32 v[4:5], s[0:1], s3, v8, v[4:5]
	v_add_co_u32_e32 v2, vcc, v0, v2
	v_addc_co_u32_e32 v3, vcc, v1, v3, vcc
	v_mov_b32_e32 v7, v4
	global_store_dwordx4 v[2:3], v[50:53], off
	v_lshlrev_b64 v[2:3], 4, v[6:7]
	v_add_u32_e32 v6, 0x2ee, v8
	v_mad_u64_u32 v[4:5], s[0:1], s2, v6, 0
	v_add_u32_e32 v9, 0x5dc, v8
	v_add_co_u32_e32 v2, vcc, v0, v2
	v_mad_u64_u32 v[5:6], s[0:1], s3, v6, v[5:6]
	v_mad_u64_u32 v[6:7], s[0:1], s2, v9, 0
	v_addc_co_u32_e32 v3, vcc, v1, v3, vcc
	global_store_dwordx4 v[2:3], v[68:71], off
	v_lshlrev_b64 v[2:3], 4, v[4:5]
	v_mov_b32_e32 v4, v7
	v_mad_u64_u32 v[4:5], s[0:1], s3, v9, v[4:5]
	v_add_co_u32_e32 v2, vcc, v0, v2
	v_addc_co_u32_e32 v3, vcc, v1, v3, vcc
	v_mov_b32_e32 v7, v4
	global_store_dwordx4 v[2:3], v[64:67], off
	v_lshlrev_b64 v[2:3], 4, v[6:7]
	v_add_u32_e32 v6, 0x8ca, v8
	v_mad_u64_u32 v[4:5], s[0:1], s2, v6, 0
	v_add_u32_e32 v8, 0xbb8, v8
	v_add_co_u32_e32 v2, vcc, v0, v2
	v_mad_u64_u32 v[5:6], s[0:1], s3, v6, v[5:6]
	v_mad_u64_u32 v[6:7], s[0:1], s2, v8, 0
	v_addc_co_u32_e32 v3, vcc, v1, v3, vcc
	global_store_dwordx4 v[2:3], v[36:39], off
	v_lshlrev_b64 v[2:3], 4, v[4:5]
	v_mov_b32_e32 v4, v7
	v_mad_u64_u32 v[4:5], s[0:1], s3, v8, v[4:5]
	v_add_co_u32_e32 v2, vcc, v0, v2
	v_addc_co_u32_e32 v3, vcc, v1, v3, vcc
	v_mov_b32_e32 v7, v4
	global_store_dwordx4 v[2:3], v[32:35], off
	v_lshlrev_b64 v[2:3], 4, v[6:7]
	v_add_co_u32_e32 v0, vcc, v0, v2
	v_addc_co_u32_e32 v1, vcc, v1, v3, vcc
	global_store_dwordx4 v[0:1], v[28:31], off
.LBB0_15:
	s_endpgm
	.section	.rodata,"a",@progbits
	.p2align	6, 0x0
	.amdhsa_kernel fft_rtc_fwd_len3750_factors_3_5_5_10_5_wgs_125_tpt_125_halfLds_dp_ip_CI_sbrr_dirReg
		.amdhsa_group_segment_fixed_size 0
		.amdhsa_private_segment_fixed_size 0
		.amdhsa_kernarg_size 88
		.amdhsa_user_sgpr_count 6
		.amdhsa_user_sgpr_private_segment_buffer 1
		.amdhsa_user_sgpr_dispatch_ptr 0
		.amdhsa_user_sgpr_queue_ptr 0
		.amdhsa_user_sgpr_kernarg_segment_ptr 1
		.amdhsa_user_sgpr_dispatch_id 0
		.amdhsa_user_sgpr_flat_scratch_init 0
		.amdhsa_user_sgpr_private_segment_size 0
		.amdhsa_uses_dynamic_stack 0
		.amdhsa_system_sgpr_private_segment_wavefront_offset 0
		.amdhsa_system_sgpr_workgroup_id_x 1
		.amdhsa_system_sgpr_workgroup_id_y 0
		.amdhsa_system_sgpr_workgroup_id_z 0
		.amdhsa_system_sgpr_workgroup_info 0
		.amdhsa_system_vgpr_workitem_id 0
		.amdhsa_next_free_vgpr 252
		.amdhsa_next_free_sgpr 24
		.amdhsa_reserve_vcc 1
		.amdhsa_reserve_flat_scratch 0
		.amdhsa_float_round_mode_32 0
		.amdhsa_float_round_mode_16_64 0
		.amdhsa_float_denorm_mode_32 3
		.amdhsa_float_denorm_mode_16_64 3
		.amdhsa_dx10_clamp 1
		.amdhsa_ieee_mode 1
		.amdhsa_fp16_overflow 0
		.amdhsa_exception_fp_ieee_invalid_op 0
		.amdhsa_exception_fp_denorm_src 0
		.amdhsa_exception_fp_ieee_div_zero 0
		.amdhsa_exception_fp_ieee_overflow 0
		.amdhsa_exception_fp_ieee_underflow 0
		.amdhsa_exception_fp_ieee_inexact 0
		.amdhsa_exception_int_div_zero 0
	.end_amdhsa_kernel
	.text
.Lfunc_end0:
	.size	fft_rtc_fwd_len3750_factors_3_5_5_10_5_wgs_125_tpt_125_halfLds_dp_ip_CI_sbrr_dirReg, .Lfunc_end0-fft_rtc_fwd_len3750_factors_3_5_5_10_5_wgs_125_tpt_125_halfLds_dp_ip_CI_sbrr_dirReg
                                        ; -- End function
	.section	.AMDGPU.csdata,"",@progbits
; Kernel info:
; codeLenInByte = 25928
; NumSgprs: 28
; NumVgprs: 252
; ScratchSize: 0
; MemoryBound: 1
; FloatMode: 240
; IeeeMode: 1
; LDSByteSize: 0 bytes/workgroup (compile time only)
; SGPRBlocks: 3
; VGPRBlocks: 62
; NumSGPRsForWavesPerEU: 28
; NumVGPRsForWavesPerEU: 252
; Occupancy: 1
; WaveLimiterHint : 1
; COMPUTE_PGM_RSRC2:SCRATCH_EN: 0
; COMPUTE_PGM_RSRC2:USER_SGPR: 6
; COMPUTE_PGM_RSRC2:TRAP_HANDLER: 0
; COMPUTE_PGM_RSRC2:TGID_X_EN: 1
; COMPUTE_PGM_RSRC2:TGID_Y_EN: 0
; COMPUTE_PGM_RSRC2:TGID_Z_EN: 0
; COMPUTE_PGM_RSRC2:TIDIG_COMP_CNT: 0
	.type	__hip_cuid_909bba3585a00e20,@object ; @__hip_cuid_909bba3585a00e20
	.section	.bss,"aw",@nobits
	.globl	__hip_cuid_909bba3585a00e20
__hip_cuid_909bba3585a00e20:
	.byte	0                               ; 0x0
	.size	__hip_cuid_909bba3585a00e20, 1

	.ident	"AMD clang version 19.0.0git (https://github.com/RadeonOpenCompute/llvm-project roc-6.4.0 25133 c7fe45cf4b819c5991fe208aaa96edf142730f1d)"
	.section	".note.GNU-stack","",@progbits
	.addrsig
	.addrsig_sym __hip_cuid_909bba3585a00e20
	.amdgpu_metadata
---
amdhsa.kernels:
  - .args:
      - .actual_access:  read_only
        .address_space:  global
        .offset:         0
        .size:           8
        .value_kind:     global_buffer
      - .offset:         8
        .size:           8
        .value_kind:     by_value
      - .actual_access:  read_only
        .address_space:  global
        .offset:         16
        .size:           8
        .value_kind:     global_buffer
      - .actual_access:  read_only
        .address_space:  global
        .offset:         24
        .size:           8
        .value_kind:     global_buffer
      - .offset:         32
        .size:           8
        .value_kind:     by_value
      - .actual_access:  read_only
        .address_space:  global
        .offset:         40
        .size:           8
        .value_kind:     global_buffer
      - .actual_access:  read_only
        .address_space:  global
        .offset:         48
        .size:           8
        .value_kind:     global_buffer
      - .offset:         56
        .size:           4
        .value_kind:     by_value
      - .actual_access:  read_only
        .address_space:  global
        .offset:         64
        .size:           8
        .value_kind:     global_buffer
      - .actual_access:  read_only
        .address_space:  global
        .offset:         72
        .size:           8
        .value_kind:     global_buffer
      - .address_space:  global
        .offset:         80
        .size:           8
        .value_kind:     global_buffer
    .group_segment_fixed_size: 0
    .kernarg_segment_align: 8
    .kernarg_segment_size: 88
    .language:       OpenCL C
    .language_version:
      - 2
      - 0
    .max_flat_workgroup_size: 125
    .name:           fft_rtc_fwd_len3750_factors_3_5_5_10_5_wgs_125_tpt_125_halfLds_dp_ip_CI_sbrr_dirReg
    .private_segment_fixed_size: 0
    .sgpr_count:     28
    .sgpr_spill_count: 0
    .symbol:         fft_rtc_fwd_len3750_factors_3_5_5_10_5_wgs_125_tpt_125_halfLds_dp_ip_CI_sbrr_dirReg.kd
    .uniform_work_group_size: 1
    .uses_dynamic_stack: false
    .vgpr_count:     252
    .vgpr_spill_count: 0
    .wavefront_size: 64
amdhsa.target:   amdgcn-amd-amdhsa--gfx906
amdhsa.version:
  - 1
  - 2
...

	.end_amdgpu_metadata
